;; amdgpu-corpus repo=ROCm/rocFFT kind=compiled arch=gfx1201 opt=O3
	.text
	.amdgcn_target "amdgcn-amd-amdhsa--gfx1201"
	.amdhsa_code_object_version 6
	.protected	bluestein_single_fwd_len952_dim1_dp_op_CI_CI ; -- Begin function bluestein_single_fwd_len952_dim1_dp_op_CI_CI
	.globl	bluestein_single_fwd_len952_dim1_dp_op_CI_CI
	.p2align	8
	.type	bluestein_single_fwd_len952_dim1_dp_op_CI_CI,@function
bluestein_single_fwd_len952_dim1_dp_op_CI_CI: ; @bluestein_single_fwd_len952_dim1_dp_op_CI_CI
; %bb.0:
	s_load_b128 s[8:11], s[0:1], 0x28
	v_mul_u32_u24_e32 v1, 0x3c4, v0
	s_mov_b32 s2, exec_lo
	s_delay_alu instid0(VALU_DEP_1) | instskip(NEXT) | instid1(VALU_DEP_1)
	v_lshrrev_b32_e32 v1, 16, v1
	v_mad_co_u64_u32 v[3:4], null, ttmp9, 3, v[1:2]
	v_mov_b32_e32 v4, 0
                                        ; kill: def $vgpr2 killed $sgpr0 killed $exec
	s_wait_kmcnt 0x0
	s_delay_alu instid0(VALU_DEP_1)
	v_cmpx_gt_u64_e64 s[8:9], v[3:4]
	s_cbranch_execz .LBB0_23
; %bb.1:
	v_mul_hi_u32 v2, 0xaaaaaaab, v3
	v_mul_lo_u16 v1, 0x44, v1
	s_clause 0x1
	s_load_b64 s[8:9], s[0:1], 0x0
	s_load_b64 s[12:13], s[0:1], 0x38
	s_delay_alu instid0(VALU_DEP_1) | instskip(SKIP_1) | instid1(VALU_DEP_4)
	v_sub_nc_u16 v0, v0, v1
	v_mov_b32_e32 v1, v3
	v_lshrrev_b32_e32 v2, 1, v2
	s_delay_alu instid0(VALU_DEP_3) | instskip(NEXT) | instid1(VALU_DEP_2)
	v_cmp_gt_u16_e32 vcc_lo, 56, v0
	v_lshl_add_u32 v2, v2, 1, v2
	scratch_store_b64 off, v[1:2], off offset:16 ; 8-byte Folded Spill
	v_sub_nc_u32_e32 v1, v3, v2
	v_and_b32_e32 v2, 0xffff, v0
	s_delay_alu instid0(VALU_DEP_2) | instskip(NEXT) | instid1(VALU_DEP_2)
	v_mul_u32_u24_e32 v255, 0x3b8, v1
	v_or_b32_e32 v0, 0x1c0, v2
	scratch_store_b32 off, v0, off offset:164 ; 4-byte Folded Spill
	v_lshlrev_b32_e32 v0, 4, v255
	s_clause 0x1
	scratch_store_b32 off, v0, off offset:4
	scratch_store_b32 off, v2, off
	v_or_b32_e32 v0, 0x380, v2
	scratch_store_b32 off, v0, off offset:160 ; 4-byte Folded Spill
	s_and_saveexec_b32 s3, vcc_lo
	s_cbranch_execz .LBB0_3
; %bb.2:
	s_clause 0x1
	scratch_load_b64 v[0:1], off, off offset:16
	scratch_load_b32 v177, off, off
	s_load_b64 s[4:5], s[0:1], 0x18
	s_wait_kmcnt 0x0
	s_load_b128 s[4:7], s[4:5], 0x0
	s_wait_loadcnt 0x0
	s_wait_kmcnt 0x0
	v_mad_co_u64_u32 v[40:41], null, s4, v177, 0
	v_mov_b32_e32 v2, v0
	v_or_b32_e32 v44, 0x380, v177
	s_delay_alu instid0(VALU_DEP_3) | instskip(NEXT) | instid1(VALU_DEP_3)
	v_mov_b32_e32 v1, v41
	v_mad_co_u64_u32 v[24:25], null, s6, v2, 0
	s_delay_alu instid0(VALU_DEP_3) | instskip(NEXT) | instid1(VALU_DEP_3)
	v_mad_co_u64_u32 v[56:57], null, s4, v44, 0
	v_mad_co_u64_u32 v[26:27], null, s5, v177, v[1:2]
	v_lshlrev_b32_e32 v176, 4, v177
	s_delay_alu instid0(VALU_DEP_2) | instskip(NEXT) | instid1(VALU_DEP_1)
	v_dual_mov_b32 v0, v25 :: v_dual_mov_b32 v41, v26
	v_mad_co_u64_u32 v[8:9], null, s7, v2, v[0:1]
	s_mul_u64 s[6:7], s[4:5], 0x380
	s_clause 0x1
	global_load_b128 v[0:3], v176, s[8:9]
	global_load_b128 v[4:7], v176, s[8:9] offset:896
	v_lshlrev_b64_e32 v[40:41], 4, v[40:41]
	v_mov_b32_e32 v25, v8
	s_clause 0x3
	global_load_b128 v[8:11], v176, s[8:9] offset:1792
	global_load_b128 v[12:15], v176, s[8:9] offset:2688
	;; [unrolled: 1-line block ×4, first 2 shown]
	v_lshlrev_b64_e32 v[42:43], 4, v[24:25]
	s_clause 0x3
	global_load_b128 v[24:27], v176, s[8:9] offset:5376
	global_load_b128 v[28:31], v176, s[8:9] offset:6272
	;; [unrolled: 1-line block ×4, first 2 shown]
	v_add_co_u32 v62, s2, s10, v42
	s_delay_alu instid0(VALU_DEP_1) | instskip(SKIP_1) | instid1(VALU_DEP_3)
	v_add_co_ci_u32_e64 v63, s2, s11, v43, s2
	v_or_b32_e32 v42, 0x1c0, v177
	v_add_co_u32 v68, s2, v62, v40
	s_wait_alu 0xf1ff
	s_delay_alu instid0(VALU_DEP_3) | instskip(NEXT) | instid1(VALU_DEP_3)
	v_add_co_ci_u32_e64 v69, s2, v63, v41, s2
	v_mad_co_u64_u32 v[48:49], null, s4, v42, 0
	s_wait_alu 0xfffe
	v_add_co_u32 v72, s2, v68, s6
	s_wait_alu 0xf1ff
	v_add_co_ci_u32_e64 v73, s2, s7, v69, s2
	v_mov_b32_e32 v41, v57
	s_delay_alu instid0(VALU_DEP_3) | instskip(SKIP_1) | instid1(VALU_DEP_3)
	v_add_co_u32 v76, s2, v72, s6
	s_wait_alu 0xf1ff
	v_add_co_ci_u32_e64 v77, s2, s7, v73, s2
	v_mov_b32_e32 v40, v49
	s_delay_alu instid0(VALU_DEP_3) | instskip(SKIP_1) | instid1(VALU_DEP_3)
	v_add_co_u32 v80, s2, v76, s6
	s_wait_alu 0xf1ff
	v_add_co_ci_u32_e64 v81, s2, s7, v77, s2
	s_delay_alu instid0(VALU_DEP_3) | instskip(NEXT) | instid1(VALU_DEP_3)
	v_mad_co_u64_u32 v[42:43], null, s5, v42, v[40:41]
	v_add_co_u32 v84, s2, v80, s6
	s_wait_alu 0xf1ff
	s_delay_alu instid0(VALU_DEP_3) | instskip(NEXT) | instid1(VALU_DEP_2)
	v_add_co_ci_u32_e64 v85, s2, s7, v81, s2
	v_add_co_u32 v88, s2, v84, s6
	s_wait_alu 0xf1ff
	s_delay_alu instid0(VALU_DEP_2) | instskip(SKIP_1) | instid1(VALU_DEP_3)
	v_add_co_ci_u32_e64 v89, s2, s7, v85, s2
	v_mad_co_u64_u32 v[50:51], null, s5, v44, v[41:42]
	v_add_co_u32 v92, s2, v88, s6
	s_wait_alu 0xf1ff
	s_delay_alu instid0(VALU_DEP_3) | instskip(NEXT) | instid1(VALU_DEP_2)
	v_add_co_ci_u32_e64 v93, s2, s7, v89, s2
	v_add_co_u32 v96, s2, v92, s6
	s_wait_alu 0xf1ff
	s_delay_alu instid0(VALU_DEP_2) | instskip(SKIP_1) | instid1(VALU_DEP_2)
	v_add_co_ci_u32_e64 v97, s2, s7, v93, s2
	v_mov_b32_e32 v57, v50
	v_mad_co_u64_u32 v[100:101], null, 0x700, s4, v[96:97]
	v_mov_b32_e32 v49, v42
	s_delay_alu instid0(VALU_DEP_3)
	v_lshlrev_b64_e32 v[56:57], 4, v[56:57]
	s_clause 0x1
	global_load_b128 v[40:43], v176, s[8:9] offset:8960
	global_load_b128 v[44:47], v176, s[8:9] offset:9856
	v_mov_b32_e32 v64, v101
	v_lshlrev_b64_e32 v[58:59], 4, v[48:49]
	s_clause 0x1
	global_load_b128 v[48:51], v176, s[8:9] offset:10752
	global_load_b128 v[52:55], v176, s[8:9] offset:11648
	v_add_co_u32 v60, s2, v62, v58
	s_wait_alu 0xf1ff
	v_add_co_ci_u32_e64 v61, s2, v63, v59, s2
	v_add_co_u32 v65, s2, v62, v56
	s_wait_alu 0xf1ff
	v_add_co_ci_u32_e64 v66, s2, v63, v57, s2
	v_add_co_u32 v104, s2, v100, s6
	s_delay_alu instid0(VALU_DEP_3)
	v_mad_co_u64_u32 v[94:95], null, 0x700, s5, v[64:65]
	global_load_b128 v[56:59], v176, s[8:9] offset:14336
	s_clause 0x6
	global_load_b128 v[60:63], v[60:61], off
	global_load_b128 v[64:67], v[65:66], off
	global_load_b128 v[68:71], v[68:69], off
	global_load_b128 v[72:75], v[72:73], off
	global_load_b128 v[76:79], v[76:77], off
	global_load_b128 v[80:83], v[80:81], off
	global_load_b128 v[84:87], v[84:85], off
	global_load_b128 v[88:91], v[88:89], off
	global_load_b128 v[96:99], v[96:97], off
	v_mov_b32_e32 v101, v94
	global_load_b128 v[92:95], v[92:93], off
	s_wait_alu 0xf1ff
	v_add_co_ci_u32_e64 v105, s2, s7, v101, s2
	v_add_co_u32 v108, s2, v104, s6
	global_load_b128 v[100:103], v[100:101], off
	s_wait_alu 0xf1ff
	v_add_co_ci_u32_e64 v109, s2, s7, v105, s2
	v_add_co_u32 v112, s2, v108, s6
	;; [unrolled: 4-line block ×5, first 2 shown]
	s_wait_alu 0xf1ff
	s_delay_alu instid0(VALU_DEP_2)
	v_add_co_ci_u32_e64 v133, s2, s7, v121, s2
	global_load_b128 v[116:119], v[116:117], off
	global_load_b128 v[120:123], v[120:121], off
	s_clause 0x1
	global_load_b128 v[124:127], v176, s[8:9] offset:12544
	global_load_b128 v[128:131], v176, s[8:9] offset:13440
	global_load_b128 v[132:135], v[132:133], off
	s_wait_loadcnt 0x10
	v_mul_f64_e32 v[136:137], v[70:71], v[2:3]
	v_mul_f64_e32 v[2:3], v[68:69], v[2:3]
	s_wait_loadcnt 0xf
	v_mul_f64_e32 v[142:143], v[74:75], v[6:7]
	v_mul_f64_e32 v[144:145], v[72:73], v[6:7]
	;; [unrolled: 1-line block ×4, first 2 shown]
	s_wait_loadcnt 0xe
	v_mul_f64_e32 v[146:147], v[78:79], v[10:11]
	v_mul_f64_e32 v[10:11], v[76:77], v[10:11]
	s_wait_loadcnt 0xd
	v_mul_f64_e32 v[148:149], v[82:83], v[14:15]
	v_mul_f64_e32 v[14:15], v[80:81], v[14:15]
	;; [unrolled: 3-line block ×5, first 2 shown]
	v_mul_f64_e32 v[156:157], v[98:99], v[30:31]
	v_mul_f64_e32 v[158:159], v[96:97], v[30:31]
	;; [unrolled: 1-line block ×3, first 2 shown]
	s_wait_loadcnt 0x8
	v_mul_f64_e32 v[160:161], v[102:103], v[38:39]
	v_mul_f64_e32 v[38:39], v[100:101], v[38:39]
	;; [unrolled: 1-line block ×3, first 2 shown]
	s_wait_loadcnt 0x7
	v_mul_f64_e32 v[162:163], v[106:107], v[42:43]
	v_mul_f64_e32 v[42:43], v[104:105], v[42:43]
	s_wait_loadcnt 0x6
	v_mul_f64_e32 v[164:165], v[110:111], v[46:47]
	v_mul_f64_e32 v[46:47], v[108:109], v[46:47]
	;; [unrolled: 3-line block ×6, first 2 shown]
	v_fma_f64 v[68:69], v[68:69], v[0:1], v[136:137]
	v_fma_f64 v[70:71], v[70:71], v[0:1], -v[2:3]
	v_fma_f64 v[0:1], v[60:61], v[32:33], v[138:139]
	v_fma_f64 v[2:3], v[62:63], v[32:33], -v[34:35]
	;; [unrolled: 2-line block ×11, first 2 shown]
	v_fma_f64 v[6:7], v[64:65], v[56:57], v[140:141]
	v_fma_f64 v[42:43], v[108:109], v[44:45], v[164:165]
	v_fma_f64 v[44:45], v[110:111], v[44:45], -v[46:47]
	v_fma_f64 v[8:9], v[66:67], v[56:57], -v[174:175]
	v_lshlrev_b32_e32 v5, 4, v255
	v_fma_f64 v[46:47], v[112:113], v[48:49], v[166:167]
	v_fma_f64 v[48:49], v[114:115], v[48:49], -v[50:51]
	s_delay_alu instid0(VALU_DEP_3)
	v_lshl_add_u32 v4, v177, 4, v5
	v_fma_f64 v[50:51], v[116:117], v[52:53], v[168:169]
	v_fma_f64 v[52:53], v[118:119], v[52:53], -v[54:55]
	v_fma_f64 v[62:63], v[120:121], v[124:125], v[170:171]
	v_fma_f64 v[64:65], v[122:123], v[124:125], -v[126:127]
	;; [unrolled: 2-line block ×3, first 2 shown]
	v_add_nc_u32_e32 v5, v5, v176
	ds_store_b128 v4, v[68:71]
	ds_store_b128 v5, v[30:33] offset:896
	ds_store_b128 v5, v[58:61] offset:1792
	;; [unrolled: 1-line block ×16, first 2 shown]
.LBB0_3:
	s_or_b32 exec_lo, exec_lo, s3
	global_wb scope:SCOPE_SE
	s_wait_storecnt_dscnt 0x0
	s_wait_kmcnt 0x0
	s_barrier_signal -1
	s_barrier_wait -1
	global_inv scope:SCOPE_SE
                                        ; implicit-def: $vgpr4_vgpr5
                                        ; implicit-def: $vgpr20_vgpr21
                                        ; implicit-def: $vgpr24_vgpr25
                                        ; implicit-def: $vgpr36_vgpr37
                                        ; implicit-def: $vgpr68_vgpr69
                                        ; implicit-def: $vgpr76_vgpr77
                                        ; implicit-def: $vgpr84_vgpr85
                                        ; implicit-def: $vgpr12_vgpr13
                                        ; implicit-def: $vgpr8_vgpr9
                                        ; implicit-def: $vgpr16_vgpr17
                                        ; implicit-def: $vgpr44_vgpr45
                                        ; implicit-def: $vgpr80_vgpr81
                                        ; implicit-def: $vgpr72_vgpr73
                                        ; implicit-def: $vgpr48_vgpr49
                                        ; implicit-def: $vgpr40_vgpr41
                                        ; implicit-def: $vgpr32_vgpr33
                                        ; implicit-def: $vgpr28_vgpr29
	s_and_saveexec_b32 s2, vcc_lo
	s_cbranch_execz .LBB0_5
; %bb.4:
	scratch_load_b32 v0, off, off           ; 4-byte Folded Reload
	s_wait_loadcnt 0x0
	v_lshlrev_b32_e32 v0, 4, v0
	s_delay_alu instid0(VALU_DEP_1)
	v_lshl_add_u32 v0, v255, 4, v0
	ds_load_b128 v[4:7], v0
	ds_load_b128 v[28:31], v0 offset:896
	ds_load_b128 v[32:35], v0 offset:1792
	;; [unrolled: 1-line block ×16, first 2 shown]
.LBB0_5:
	s_wait_alu 0xfffe
	s_or_b32 exec_lo, exec_lo, s2
	s_wait_dscnt 0x0
	v_add_f64_e64 v[162:163], v[30:31], -v[10:11]
	v_add_f64_e64 v[102:103], v[34:35], -v[14:15]
	s_mov_b32 s6, 0x5d8e7cdc
	s_mov_b32 s16, 0x2a9d6da3
	;; [unrolled: 1-line block ×4, first 2 shown]
	v_add_f64_e32 v[156:157], v[8:9], v[28:29]
	v_add_f64_e64 v[100:101], v[32:33], -v[12:13]
	s_mov_b32 s10, 0x370991
	s_mov_b32 s11, 0x3fedd6d0
	v_add_f64_e32 v[88:89], v[12:13], v[32:33]
	s_mov_b32 s14, 0x75d4884
	s_mov_b32 s15, 0x3fe7a5f6
	v_add_f64_e32 v[178:179], v[10:11], v[30:31]
	v_add_f64_e32 v[96:97], v[14:15], v[34:35]
	v_add_f64_e64 v[114:115], v[22:23], -v[18:19]
	s_mov_b32 s20, 0x7c9e640b
	s_mov_b32 s21, 0xbfeca52d
	v_add_f64_e32 v[92:93], v[20:21], v[16:17]
	s_mov_b32 s18, 0x2b2883cd
	s_mov_b32 s19, 0x3fdc86fa
	v_add_f64_e64 v[112:113], v[20:21], -v[16:17]
	v_add_f64_e32 v[108:109], v[22:23], v[18:19]
	v_add_f64_e64 v[124:125], v[26:27], -v[46:47]
	s_mov_b32 s24, 0xeb564b22
	s_mov_b32 s25, 0xbfefdd0d
	v_add_f64_e32 v[104:105], v[24:25], v[44:45]
	s_mov_b32 s22, 0x3259b75e
	s_mov_b32 s23, 0x3fb79ee6
	v_add_f64_e64 v[126:127], v[24:25], -v[44:45]
	;; [unrolled: 8-line block ×3, first 2 shown]
	s_wait_alu 0xfffe
	v_mul_f64_e32 v[0:1], s[6:7], v[162:163]
	v_mul_f64_e32 v[2:3], s[16:17], v[102:103]
	v_add_f64_e32 v[132:133], v[86:87], v[42:43]
	v_add_f64_e64 v[168:169], v[50:51], -v[78:79]
	s_mov_b32 s56, 0x6c9a05f6
	s_mov_b32 s57, 0xbfe9895b
	v_add_f64_e32 v[128:129], v[76:77], v[48:49]
	v_mul_f64_e32 v[54:55], s[16:17], v[100:101]
	s_mov_b32 s30, 0x6ed5f1bb
	s_mov_b32 s31, 0xbfe348c8
	v_add_f64_e64 v[160:161], v[48:49], -v[76:77]
	v_add_f64_e32 v[144:145], v[78:79], v[50:51]
	v_add_f64_e64 v[172:173], v[38:39], -v[82:83]
	s_mov_b32 s38, 0x4363dd80
	s_mov_b32 s39, 0x3fe0d888
	;; [unrolled: 1-line block ×4, first 2 shown]
	v_add_f64_e32 v[138:139], v[36:37], v[80:81]
	s_mov_b32 s34, 0x910ea3b9
	s_mov_b32 s35, 0xbfeb34fa
	v_add_f64_e64 v[170:171], v[36:37], -v[80:81]
	v_add_f64_e32 v[152:153], v[38:39], v[82:83]
	v_add_f64_e64 v[176:177], v[70:71], -v[74:75]
	s_mov_b32 s40, 0xacd6c6b4
	s_mov_b32 s41, 0xbfc7851a
	v_add_f64_e32 v[148:149], v[68:69], v[72:73]
	s_mov_b32 s36, 0x7faef3
	s_mov_b32 s37, 0xbfef7484
	v_add_f64_e64 v[174:175], v[68:69], -v[72:73]
	v_add_f64_e32 v[164:165], v[70:71], v[74:75]
	v_mul_f64_e32 v[186:187], s[16:17], v[162:163]
	s_mov_b32 s53, 0x3feec746
	s_mov_b32 s52, s28
	;; [unrolled: 1-line block ×6, first 2 shown]
	v_mul_f64_e32 v[213:214], s[38:39], v[142:143]
	v_mul_f64_e32 v[190:191], s[20:21], v[162:163]
	s_clause 0x1
	scratch_store_b64 off, v[2:3], off offset:8
	scratch_store_b64 off, v[0:1], off offset:168
	v_fma_f64 v[0:1], v[156:157], s[10:11], v[0:1]
	v_fma_f64 v[2:3], v[88:89], s[14:15], v[2:3]
	v_mul_f64_e32 v[211:212], s[52:53], v[168:169]
	v_mul_f64_e32 v[206:207], s[56:57], v[100:101]
	scratch_store_b64 off, v[54:55], off offset:56 ; 8-byte Folded Spill
	v_fma_f64 v[54:55], v[96:97], s[14:15], -v[54:55]
	s_mov_b32 s49, 0x3fc7851a
	v_mul_f64_e32 v[233:234], s[52:53], v[160:161]
	s_mov_b32 s48, s40
	v_mul_f64_e32 v[235:236], s[52:53], v[126:127]
	v_mul_f64_e32 v[219:220], s[48:49], v[112:113]
	s_mov_b32 s51, 0x3fe58eea
	s_mov_b32 s50, s16
	v_mul_f64_e32 v[249:250], s[6:7], v[168:169]
	v_mul_f64_e32 v[231:232], s[50:51], v[136:137]
	;; [unrolled: 1-line block ×20, first 2 shown]
	s_mov_b32 s55, 0x3fe9895b
	s_mov_b32 s54, s56
	v_mul_f64_e32 v[245:246], s[50:51], v[176:177]
	v_mul_f64_e32 v[253:254], s[54:55], v[172:173]
	;; [unrolled: 1-line block ×3, first 2 shown]
	v_add_f64_e32 v[0:1], v[4:5], v[0:1]
	v_mul_f64_e32 v[98:99], s[50:51], v[174:175]
	v_mul_f64_e32 v[198:199], s[28:29], v[162:163]
	v_fma_f64 v[58:59], v[96:97], s[30:31], -v[206:207]
	v_mul_f64_e32 v[225:226], s[38:39], v[102:103]
	v_mul_f64_e32 v[251:252], s[38:39], v[100:101]
	;; [unrolled: 1-line block ×8, first 2 shown]
	s_mov_b32 s59, 0x3fefdd0d
	s_mov_b32 s58, s24
	v_mul_f64_e32 v[130:131], s[6:7], v[172:173]
	v_mul_f64_e32 v[180:181], s[58:59], v[168:169]
	;; [unrolled: 1-line block ×4, first 2 shown]
	v_fma_f64 v[60:61], v[88:89], s[36:37], v[209:210]
	v_fma_f64 v[62:63], v[96:97], s[36:37], -v[229:230]
	v_add_f64_e32 v[2:3], v[2:3], v[0:1]
	v_add_f64_e64 v[0:1], v[28:29], -v[8:9]
	v_fma_f64 v[118:119], v[96:97], s[34:35], -v[251:252]
	s_delay_alu instid0(VALU_DEP_2)
	v_mul_f64_e32 v[52:53], s[6:7], v[0:1]
	v_mul_f64_e32 v[188:189], s[16:17], v[0:1]
	;; [unrolled: 1-line block ×5, first 2 shown]
	scratch_store_b64 off, v[52:53], off offset:200 ; 8-byte Folded Spill
	v_fma_f64 v[52:53], v[178:179], s[10:11], -v[52:53]
	s_delay_alu instid0(VALU_DEP_1) | instskip(NEXT) | instid1(VALU_DEP_1)
	v_add_f64_e32 v[52:53], v[6:7], v[52:53]
	v_add_f64_e32 v[52:53], v[54:55], v[52:53]
	v_mul_f64_e32 v[54:55], s[20:21], v[114:115]
	scratch_store_b64 off, v[54:55], off offset:40 ; 8-byte Folded Spill
	v_fma_f64 v[54:55], v[92:93], s[18:19], v[54:55]
	s_delay_alu instid0(VALU_DEP_1) | instskip(SKIP_3) | instid1(VALU_DEP_1)
	v_add_f64_e32 v[2:3], v[54:55], v[2:3]
	v_mul_f64_e32 v[54:55], s[20:21], v[112:113]
	scratch_store_b64 off, v[54:55], off offset:80 ; 8-byte Folded Spill
	v_fma_f64 v[54:55], v[108:109], s[18:19], -v[54:55]
	v_add_f64_e32 v[52:53], v[54:55], v[52:53]
	v_mul_f64_e32 v[54:55], s[24:25], v[124:125]
	scratch_store_b64 off, v[54:55], off offset:72 ; 8-byte Folded Spill
	v_fma_f64 v[54:55], v[104:105], s[22:23], v[54:55]
	s_delay_alu instid0(VALU_DEP_1) | instskip(SKIP_3) | instid1(VALU_DEP_1)
	v_add_f64_e32 v[2:3], v[54:55], v[2:3]
	v_mul_f64_e32 v[54:55], s[24:25], v[126:127]
	scratch_store_b64 off, v[54:55], off offset:96 ; 8-byte Folded Spill
	v_fma_f64 v[54:55], v[120:121], s[22:23], -v[54:55]
	;; [unrolled: 9-line block ×6, first 2 shown]
	v_add_f64_e32 v[56:57], v[2:3], v[52:53]
	v_fma_f64 v[2:3], v[156:157], s[14:15], v[186:187]
	v_mul_f64_e32 v[52:53], s[24:25], v[102:103]
	scratch_store_b128 off, v[54:57], off offset:24 ; 16-byte Folded Spill
	v_add_f64_e32 v[2:3], v[4:5], v[2:3]
	scratch_store_b64 off, v[52:53], off offset:216 ; 8-byte Folded Spill
	v_fma_f64 v[52:53], v[88:89], s[22:23], v[52:53]
	v_mul_f64_e32 v[54:55], s[24:25], v[100:101]
	v_mul_f64_e32 v[56:57], s[56:57], v[102:103]
	s_delay_alu instid0(VALU_DEP_3)
	v_add_f64_e32 v[2:3], v[52:53], v[2:3]
	v_fma_f64 v[52:53], v[178:179], s[14:15], -v[188:189]
	scratch_store_b64 off, v[54:55], off offset:240 ; 8-byte Folded Spill
	v_fma_f64 v[54:55], v[96:97], s[22:23], -v[54:55]
	scratch_store_b64 off, v[56:57], off offset:248 ; 8-byte Folded Spill
	v_fma_f64 v[56:57], v[88:89], s[30:31], v[56:57]
	v_add_f64_e32 v[52:53], v[6:7], v[52:53]
	s_delay_alu instid0(VALU_DEP_1) | instskip(SKIP_3) | instid1(VALU_DEP_1)
	v_add_f64_e32 v[52:53], v[54:55], v[52:53]
	v_mul_f64_e32 v[54:55], s[56:57], v[114:115]
	scratch_store_b64 off, v[54:55], off offset:224 ; 8-byte Folded Spill
	v_fma_f64 v[54:55], v[92:93], s[30:31], v[54:55]
	v_add_f64_e32 v[2:3], v[54:55], v[2:3]
	v_mul_f64_e32 v[54:55], s[56:57], v[112:113]
	scratch_store_b64 off, v[54:55], off offset:256 ; 8-byte Folded Spill
	v_fma_f64 v[54:55], v[108:109], s[30:31], -v[54:55]
	s_delay_alu instid0(VALU_DEP_1) | instskip(SKIP_3) | instid1(VALU_DEP_1)
	v_add_f64_e32 v[52:53], v[54:55], v[52:53]
	v_mul_f64_e32 v[54:55], s[40:41], v[124:125]
	scratch_store_b64 off, v[54:55], off offset:232 ; 8-byte Folded Spill
	v_fma_f64 v[54:55], v[104:105], s[36:37], v[54:55]
	v_add_f64_e32 v[2:3], v[54:55], v[2:3]
	v_mul_f64_e32 v[54:55], s[40:41], v[126:127]
	scratch_store_b64 off, v[54:55], off offset:296 ; 8-byte Folded Spill
	v_fma_f64 v[54:55], v[120:121], s[36:37], -v[54:55]
	s_delay_alu instid0(VALU_DEP_1) | instskip(SKIP_3) | instid1(VALU_DEP_1)
	v_add_f64_e32 v[52:53], v[54:55], v[52:53]
	v_mul_f64_e32 v[54:55], s[38:39], v[136:137]
	scratch_store_b64 off, v[54:55], off offset:264 ; 8-byte Folded Spill
	v_fma_f64 v[54:55], v[116:117], s[34:35], v[54:55]
	v_add_f64_e32 v[2:3], v[54:55], v[2:3]
	v_fma_f64 v[54:55], v[132:133], s[34:35], -v[213:214]
	s_delay_alu instid0(VALU_DEP_1) | instskip(SKIP_1) | instid1(VALU_DEP_1)
	v_add_f64_e32 v[52:53], v[54:55], v[52:53]
	v_fma_f64 v[54:55], v[128:129], s[26:27], v[211:212]
	v_add_f64_e32 v[2:3], v[54:55], v[2:3]
	v_fma_f64 v[54:55], v[144:145], s[26:27], -v[233:234]
	s_delay_alu instid0(VALU_DEP_1) | instskip(SKIP_3) | instid1(VALU_DEP_1)
	v_add_f64_e32 v[52:53], v[54:55], v[52:53]
	v_mul_f64_e32 v[54:55], s[46:47], v[172:173]
	scratch_store_b64 off, v[54:55], off offset:272 ; 8-byte Folded Spill
	v_fma_f64 v[54:55], v[138:139], s[18:19], v[54:55]
	v_add_f64_e32 v[2:3], v[54:55], v[2:3]
	v_fma_f64 v[54:55], v[152:153], s[18:19], -v[204:205]
	s_delay_alu instid0(VALU_DEP_1) | instskip(SKIP_3) | instid1(VALU_DEP_1)
	v_add_f64_e32 v[54:55], v[54:55], v[52:53]
	v_mul_f64_e32 v[52:53], s[44:45], v[176:177]
	scratch_store_b64 off, v[52:53], off offset:280 ; 8-byte Folded Spill
	v_fma_f64 v[52:53], v[148:149], s[10:11], v[52:53]
	v_add_f64_e32 v[52:53], v[52:53], v[2:3]
	v_fma_f64 v[2:3], v[164:165], s[10:11], -v[215:216]
	s_delay_alu instid0(VALU_DEP_1) | instskip(SKIP_1) | instid1(VALU_DEP_1)
	v_add_f64_e32 v[54:55], v[2:3], v[54:55]
	v_fma_f64 v[2:3], v[156:157], s[18:19], v[190:191]
	v_add_f64_e32 v[2:3], v[4:5], v[2:3]
	s_delay_alu instid0(VALU_DEP_1) | instskip(SKIP_1) | instid1(VALU_DEP_1)
	v_add_f64_e32 v[2:3], v[56:57], v[2:3]
	v_fma_f64 v[56:57], v[178:179], s[18:19], -v[192:193]
	v_add_f64_e32 v[56:57], v[6:7], v[56:57]
	s_delay_alu instid0(VALU_DEP_1) | instskip(SKIP_3) | instid1(VALU_DEP_1)
	v_add_f64_e32 v[56:57], v[58:59], v[56:57]
	v_mul_f64_e32 v[58:59], s[48:49], v[114:115]
	scratch_store_b64 off, v[58:59], off offset:288 ; 8-byte Folded Spill
	v_fma_f64 v[58:59], v[92:93], s[36:37], v[58:59]
	v_add_f64_e32 v[2:3], v[58:59], v[2:3]
	v_fma_f64 v[58:59], v[108:109], s[36:37], -v[219:220]
	s_delay_alu instid0(VALU_DEP_1)
	v_add_f64_e32 v[56:57], v[58:59], v[56:57]
	v_mul_f64_e32 v[58:59], s[52:53], v[124:125]
	scratch_store_b64 off, v[58:59], off offset:304 ; 8-byte Folded Spill
	v_fma_f64 v[58:59], v[104:105], s[26:27], v[58:59]
	s_clause 0x1
	s_load_b64 s[4:5], s[0:1], 0x20
	s_load_b64 s[2:3], s[0:1], 0x8
	global_wb scope:SCOPE_SE
	s_wait_storecnt 0x0
	s_wait_kmcnt 0x0
	s_barrier_signal -1
	s_barrier_wait -1
	global_inv scope:SCOPE_SE
	v_add_f64_e32 v[2:3], v[58:59], v[2:3]
	v_fma_f64 v[58:59], v[120:121], s[26:27], -v[235:236]
	s_delay_alu instid0(VALU_DEP_1) | instskip(SKIP_1) | instid1(VALU_DEP_1)
	v_add_f64_e32 v[56:57], v[58:59], v[56:57]
	v_fma_f64 v[58:59], v[116:117], s[14:15], v[231:232]
	v_add_f64_e32 v[2:3], v[58:59], v[2:3]
	v_fma_f64 v[58:59], v[132:133], s[14:15], -v[94:95]
	s_delay_alu instid0(VALU_DEP_1) | instskip(SKIP_1) | instid1(VALU_DEP_1)
	v_add_f64_e32 v[56:57], v[58:59], v[56:57]
	v_fma_f64 v[58:59], v[128:129], s[10:11], v[249:250]
	;; [unrolled: 5-line block ×5, first 2 shown]
	v_add_f64_e32 v[2:3], v[4:5], v[2:3]
	s_delay_alu instid0(VALU_DEP_1) | instskip(SKIP_1) | instid1(VALU_DEP_1)
	v_add_f64_e32 v[2:3], v[60:61], v[2:3]
	v_fma_f64 v[60:61], v[178:179], s[22:23], -v[196:197]
	v_add_f64_e32 v[60:61], v[6:7], v[60:61]
	s_delay_alu instid0(VALU_DEP_1) | instskip(SKIP_1) | instid1(VALU_DEP_1)
	v_add_f64_e32 v[60:61], v[62:63], v[60:61]
	v_fma_f64 v[62:63], v[92:93], s[26:27], v[221:222]
	v_add_f64_e32 v[2:3], v[62:63], v[2:3]
	v_fma_f64 v[62:63], v[108:109], s[26:27], -v[247:248]
	s_delay_alu instid0(VALU_DEP_1) | instskip(SKIP_1) | instid1(VALU_DEP_1)
	v_add_f64_e32 v[60:61], v[62:63], v[60:61]
	v_fma_f64 v[62:63], v[104:105], s[10:11], v[227:228]
	v_add_f64_e32 v[2:3], v[62:63], v[2:3]
	v_fma_f64 v[62:63], v[120:121], s[10:11], -v[106:107]
	;; [unrolled: 5-line block ×3, first 2 shown]
	s_delay_alu instid0(VALU_DEP_1) | instskip(SKIP_1) | instid1(VALU_DEP_1)
	v_add_f64_e32 v[60:61], v[62:63], v[60:61]
	v_fma_f64 v[62:63], v[128:129], s[34:35], v[134:135]
	v_add_f64_e32 v[62:63], v[62:63], v[2:3]
	v_mul_f64_e32 v[2:3], s[42:43], v[160:161]
	s_delay_alu instid0(VALU_DEP_1) | instskip(NEXT) | instid1(VALU_DEP_1)
	v_fma_f64 v[64:65], v[144:145], s[34:35], -v[2:3]
	v_add_f64_e32 v[60:61], v[64:65], v[60:61]
	v_fma_f64 v[64:65], v[138:139], s[30:31], v[253:254]
	s_delay_alu instid0(VALU_DEP_1) | instskip(SKIP_1) | instid1(VALU_DEP_1)
	v_add_f64_e32 v[62:63], v[64:65], v[62:63]
	v_fma_f64 v[64:65], v[152:153], s[30:31], -v[110:111]
	v_add_f64_e32 v[60:61], v[64:65], v[60:61]
	v_fma_f64 v[64:65], v[148:149], s[14:15], v[245:246]
	s_delay_alu instid0(VALU_DEP_1) | instskip(SKIP_1) | instid1(VALU_DEP_1)
	v_add_f64_e32 v[64:65], v[64:65], v[62:63]
	v_fma_f64 v[62:63], v[164:165], s[14:15], -v[98:99]
	v_add_f64_e32 v[66:67], v[62:63], v[60:61]
	v_fma_f64 v[60:61], v[156:157], s[26:27], v[198:199]
	v_fma_f64 v[62:63], v[88:89], s[34:35], v[225:226]
	s_delay_alu instid0(VALU_DEP_2) | instskip(NEXT) | instid1(VALU_DEP_1)
	v_add_f64_e32 v[60:61], v[4:5], v[60:61]
	v_add_f64_e32 v[60:61], v[62:63], v[60:61]
	v_fma_f64 v[62:63], v[178:179], s[26:27], -v[200:201]
	s_delay_alu instid0(VALU_DEP_1) | instskip(NEXT) | instid1(VALU_DEP_1)
	v_add_f64_e32 v[62:63], v[6:7], v[62:63]
	v_add_f64_e32 v[62:63], v[118:119], v[62:63]
	v_fma_f64 v[118:119], v[92:93], s[14:15], v[241:242]
	s_delay_alu instid0(VALU_DEP_1) | instskip(SKIP_1) | instid1(VALU_DEP_1)
	v_add_f64_e32 v[60:61], v[118:119], v[60:61]
	v_fma_f64 v[118:119], v[108:109], s[14:15], -v[122:123]
	v_add_f64_e32 v[62:63], v[118:119], v[62:63]
	v_fma_f64 v[118:119], v[104:105], s[18:19], v[243:244]
	s_delay_alu instid0(VALU_DEP_1) | instskip(SKIP_1) | instid1(VALU_DEP_1)
	v_add_f64_e32 v[60:61], v[118:119], v[60:61]
	v_fma_f64 v[118:119], v[120:121], s[18:19], -v[158:159]
	v_add_f64_e32 v[62:63], v[118:119], v[62:63]
	v_fma_f64 v[118:119], v[116:117], s[36:37], v[140:141]
	s_delay_alu instid0(VALU_DEP_1) | instskip(SKIP_1) | instid1(VALU_DEP_1)
	v_add_f64_e32 v[60:61], v[118:119], v[60:61]
	v_fma_f64 v[118:119], v[132:133], s[36:37], -v[182:183]
	v_add_f64_e32 v[62:63], v[118:119], v[62:63]
	v_fma_f64 v[118:119], v[128:129], s[22:23], v[180:181]
	s_delay_alu instid0(VALU_DEP_1) | instskip(SKIP_1) | instid1(VALU_DEP_1)
	v_add_f64_e32 v[60:61], v[118:119], v[60:61]
	v_fma_f64 v[118:119], v[144:145], s[22:23], -v[184:185]
	v_add_f64_e32 v[62:63], v[118:119], v[62:63]
	v_fma_f64 v[118:119], v[138:139], s[10:11], v[130:131]
	s_delay_alu instid0(VALU_DEP_1) | instskip(SKIP_1) | instid1(VALU_DEP_1)
	v_add_f64_e32 v[60:61], v[118:119], v[60:61]
	v_fma_f64 v[118:119], v[152:153], s[10:11], -v[166:167]
	v_add_f64_e32 v[62:63], v[118:119], v[62:63]
	v_mul_f64_e32 v[118:119], s[56:57], v[176:177]
	s_delay_alu instid0(VALU_DEP_1) | instskip(NEXT) | instid1(VALU_DEP_1)
	v_fma_f64 v[154:155], v[148:149], s[30:31], v[118:119]
	v_add_f64_e32 v[60:61], v[154:155], v[60:61]
	v_mul_f64_e32 v[154:155], s[56:57], v[174:175]
	s_delay_alu instid0(VALU_DEP_1) | instskip(NEXT) | instid1(VALU_DEP_1)
	v_fma_f64 v[202:203], v[164:165], s[30:31], -v[154:155]
	v_add_f64_e32 v[62:63], v[202:203], v[62:63]
	s_and_saveexec_b32 s0, vcc_lo
	s_cbranch_execz .LBB0_7
; %bb.6:
	v_add_f64_e32 v[28:29], v[4:5], v[28:29]
	v_add_f64_e32 v[30:31], v[6:7], v[30:31]
	scratch_load_b64 v[202:203], off, off offset:216 th:TH_LOAD_LU ; 8-byte Folded Reload
	v_add_f64_e32 v[28:29], v[32:33], v[28:29]
	v_add_f64_e32 v[30:31], v[34:35], v[30:31]
	v_mul_f64_e32 v[32:33], s[18:19], v[156:157]
	v_mul_f64_e32 v[34:35], s[14:15], v[178:179]
	s_delay_alu instid0(VALU_DEP_4) | instskip(NEXT) | instid1(VALU_DEP_4)
	v_add_f64_e32 v[20:21], v[20:21], v[28:29]
	v_add_f64_e32 v[22:23], v[22:23], v[30:31]
	v_mul_f64_e32 v[30:31], s[18:19], v[178:179]
	v_mul_f64_e32 v[28:29], s[22:23], v[156:157]
	v_add_f64_e64 v[32:33], v[32:33], -v[190:191]
	v_add_f64_e32 v[34:35], v[188:189], v[34:35]
	v_mul_f64_e32 v[188:189], s[26:27], v[164:165]
	v_mul_f64_e32 v[190:191], s[28:29], v[176:177]
	v_add_f64_e32 v[20:21], v[24:25], v[20:21]
	v_add_f64_e32 v[22:23], v[26:27], v[22:23]
	v_mul_f64_e32 v[26:27], s[22:23], v[178:179]
	v_mul_f64_e32 v[24:25], s[26:27], v[156:157]
	v_add_f64_e32 v[30:31], v[192:193], v[30:31]
	scratch_load_b64 v[192:193], off, off offset:296 th:TH_LOAD_LU ; 8-byte Folded Reload
	v_add_f64_e64 v[28:29], v[28:29], -v[194:195]
	scratch_load_b64 v[194:195], off, off offset:256 th:TH_LOAD_LU ; 8-byte Folded Reload
	v_add_f64_e32 v[20:21], v[40:41], v[20:21]
	v_add_f64_e32 v[22:23], v[42:43], v[22:23]
	scratch_load_b64 v[40:41], off, off offset:200 th:TH_LOAD_LU ; 8-byte Folded Reload
	v_add_f64_e32 v[26:27], v[196:197], v[26:27]
	scratch_load_b64 v[196:197], off, off offset:240 th:TH_LOAD_LU ; 8-byte Folded Reload
	v_mul_f64_e32 v[42:43], s[42:43], v[162:163]
	v_add_f64_e64 v[24:25], v[24:25], -v[198:199]
	v_add_f64_e32 v[28:29], v[4:5], v[28:29]
	v_mul_f64_e32 v[198:199], s[34:35], v[116:117]
	v_add_f64_e32 v[20:21], v[48:49], v[20:21]
	v_add_f64_e32 v[22:23], v[50:51], v[22:23]
	v_fma_f64 v[48:49], v[156:157], s[34:35], v[42:43]
	v_fma_f64 v[42:43], v[156:157], s[34:35], -v[42:43]
	s_delay_alu instid0(VALU_DEP_4) | instskip(NEXT) | instid1(VALU_DEP_4)
	v_add_f64_e32 v[20:21], v[36:37], v[20:21]
	v_add_f64_e32 v[22:23], v[38:39], v[22:23]
	v_mul_f64_e32 v[38:39], s[10:11], v[178:179]
	v_mul_f64_e32 v[36:37], s[14:15], v[156:157]
	v_add_f64_e32 v[48:49], v[4:5], v[48:49]
	v_add_f64_e32 v[42:43], v[4:5], v[42:43]
	;; [unrolled: 1-line block ×4, first 2 shown]
	scratch_load_b64 v[70:71], off, off offset:168 th:TH_LOAD_LU ; 8-byte Folded Reload
	v_mul_f64_e32 v[68:69], s[10:11], v[156:157]
	v_add_f64_e64 v[36:37], v[36:37], -v[186:187]
	v_mul_f64_e32 v[186:187], s[58:59], v[176:177]
	v_add_f64_e32 v[20:21], v[72:73], v[20:21]
	v_add_f64_e32 v[22:23], v[74:75], v[22:23]
	s_delay_alu instid0(VALU_DEP_2) | instskip(NEXT) | instid1(VALU_DEP_2)
	v_add_f64_e32 v[20:21], v[80:81], v[20:21]
	v_add_f64_e32 v[22:23], v[82:83], v[22:23]
	s_delay_alu instid0(VALU_DEP_2) | instskip(NEXT) | instid1(VALU_DEP_2)
	v_add_f64_e32 v[20:21], v[76:77], v[20:21]
	v_add_f64_e32 v[22:23], v[78:79], v[22:23]
	;; [unrolled: 1-line block ×4, first 2 shown]
	v_mul_f64_e32 v[30:31], s[34:35], v[108:109]
	v_add_f64_e32 v[20:21], v[84:85], v[20:21]
	v_add_f64_e32 v[22:23], v[86:87], v[22:23]
	s_delay_alu instid0(VALU_DEP_2) | instskip(NEXT) | instid1(VALU_DEP_2)
	v_add_f64_e32 v[20:21], v[44:45], v[20:21]
	v_add_f64_e32 v[22:23], v[46:47], v[22:23]
	v_mul_f64_e32 v[44:45], s[56:57], v[162:163]
	s_wait_loadcnt 0x2
	v_add_f64_e32 v[38:39], v[40:41], v[38:39]
	v_mul_f64_e32 v[40:41], s[40:41], v[162:163]
	v_add_f64_e32 v[16:17], v[16:17], v[20:21]
	v_add_f64_e32 v[18:19], v[18:19], v[22:23]
	v_mul_f64_e32 v[20:21], s[30:31], v[178:179]
	v_fma_f64 v[50:51], v[156:157], s[30:31], v[44:45]
	v_fma_f64 v[44:45], v[156:157], s[30:31], -v[44:45]
	v_add_f64_e32 v[80:81], v[6:7], v[38:39]
	v_fma_f64 v[46:47], v[156:157], s[36:37], v[40:41]
	v_fma_f64 v[40:41], v[156:157], s[36:37], -v[40:41]
	v_add_f64_e32 v[12:13], v[12:13], v[16:17]
	v_mul_f64_e32 v[16:17], s[34:35], v[178:179]
	v_add_f64_e32 v[14:15], v[14:15], v[18:19]
	v_fma_f64 v[22:23], v[0:1], s[54:55], v[20:21]
	v_add_f64_e32 v[50:51], v[4:5], v[50:51]
	v_add_f64_e32 v[44:45], v[4:5], v[44:45]
	;; [unrolled: 1-line block ×5, first 2 shown]
	v_mul_f64_e32 v[12:13], s[36:37], v[178:179]
	v_fma_f64 v[18:19], v[0:1], s[38:39], v[16:17]
	v_fma_f64 v[16:17], v[0:1], s[42:43], v[16:17]
	v_add_f64_e32 v[10:11], v[10:11], v[14:15]
	v_add_f64_e32 v[72:73], v[6:7], v[22:23]
	;; [unrolled: 1-line block ×3, first 2 shown]
	s_wait_loadcnt 0x0
	v_add_f64_e64 v[68:69], v[68:69], -v[70:71]
	v_fma_f64 v[14:15], v[0:1], s[48:49], v[12:13]
	v_fma_f64 v[12:13], v[0:1], s[40:41], v[12:13]
	;; [unrolled: 1-line block ×3, first 2 shown]
	v_add_f64_e32 v[70:71], v[6:7], v[16:17]
	v_mul_f64_e32 v[16:17], s[10:11], v[96:97]
	v_mul_f64_e32 v[20:21], s[26:27], v[178:179]
	v_add_f64_e32 v[18:19], v[6:7], v[18:19]
	v_mul_f64_e32 v[178:179], s[22:23], v[164:165]
	v_add_f64_e32 v[68:69], v[4:5], v[68:69]
	v_add_f64_e32 v[14:15], v[6:7], v[14:15]
	;; [unrolled: 1-line block ×6, first 2 shown]
	v_fma_f64 v[4:5], v[100:101], s[6:7], v[16:17]
	v_add_f64_e32 v[20:21], v[200:201], v[20:21]
	scratch_load_b64 v[200:201], off, off offset:264 th:TH_LOAD_LU ; 8-byte Folded Reload
	v_fma_f64 v[32:33], v[112:113], s[38:39], v[30:31]
	v_fma_f64 v[16:17], v[100:101], s[44:45], v[16:17]
	v_add_f64_e32 v[4:5], v[4:5], v[14:15]
	v_mul_f64_e32 v[14:15], s[44:45], v[102:103]
	v_add_f64_e32 v[76:77], v[6:7], v[20:21]
	v_add_f64_e32 v[20:21], v[6:7], v[34:35]
	;; [unrolled: 1-line block ×3, first 2 shown]
	v_fma_f64 v[16:17], v[112:113], s[42:43], v[30:31]
	v_fma_f64 v[30:31], v[148:149], s[22:23], -v[186:187]
	v_add_f64_e32 v[4:5], v[32:33], v[4:5]
	v_fma_f64 v[6:7], v[88:89], s[10:11], v[14:15]
	v_mul_f64_e32 v[32:33], s[42:43], v[114:115]
	v_fma_f64 v[14:15], v[88:89], s[10:11], -v[14:15]
	v_add_f64_e32 v[12:13], v[16:17], v[12:13]
	s_delay_alu instid0(VALU_DEP_4) | instskip(NEXT) | instid1(VALU_DEP_4)
	v_add_f64_e32 v[6:7], v[6:7], v[46:47]
	v_fma_f64 v[34:35], v[92:93], s[34:35], v[32:33]
	s_delay_alu instid0(VALU_DEP_4)
	v_add_f64_e32 v[14:15], v[14:15], v[40:41]
	v_fma_f64 v[16:17], v[92:93], s[34:35], -v[32:33]
	v_mul_f64_e32 v[40:41], s[22:23], v[108:109]
	v_mul_f64_e32 v[32:33], s[34:35], v[132:133]
	v_add_f64_e32 v[6:7], v[34:35], v[6:7]
	v_mul_f64_e32 v[34:35], s[14:15], v[120:121]
	v_add_f64_e32 v[14:15], v[16:17], v[14:15]
	s_delay_alu instid0(VALU_DEP_4) | instskip(NEXT) | instid1(VALU_DEP_3)
	v_add_f64_e32 v[32:33], v[213:214], v[32:33]
	v_fma_f64 v[36:37], v[126:127], s[16:17], v[34:35]
	v_fma_f64 v[16:17], v[126:127], s[50:51], v[34:35]
	v_mul_f64_e32 v[34:35], s[36:37], v[120:121]
	s_delay_alu instid0(VALU_DEP_3) | instskip(SKIP_1) | instid1(VALU_DEP_3)
	v_add_f64_e32 v[4:5], v[36:37], v[4:5]
	v_mul_f64_e32 v[36:37], s[50:51], v[124:125]
	v_add_f64_e32 v[34:35], v[192:193], v[34:35]
	v_mul_f64_e32 v[192:193], s[30:31], v[108:109]
	v_add_f64_e32 v[12:13], v[16:17], v[12:13]
	s_delay_alu instid0(VALU_DEP_4) | instskip(SKIP_1) | instid1(VALU_DEP_4)
	v_fma_f64 v[38:39], v[104:105], s[14:15], v[36:37]
	v_fma_f64 v[16:17], v[104:105], s[14:15], -v[36:37]
	v_add_f64_e32 v[192:193], v[194:195], v[192:193]
	v_mul_f64_e32 v[194:195], s[22:23], v[96:97]
	v_mul_f64_e32 v[36:37], s[18:19], v[96:97]
	v_add_f64_e32 v[6:7], v[38:39], v[6:7]
	v_mul_f64_e32 v[38:39], s[30:31], v[132:133]
	v_add_f64_e32 v[14:15], v[16:17], v[14:15]
	v_add_f64_e32 v[194:195], v[196:197], v[194:195]
	v_mul_f64_e32 v[196:197], s[26:27], v[128:129]
	s_wait_loadcnt 0x0
	v_add_f64_e64 v[198:199], v[198:199], -v[200:201]
	v_mul_f64_e32 v[200:201], s[22:23], v[88:89]
	v_fma_f64 v[46:47], v[142:143], s[54:55], v[38:39]
	v_fma_f64 v[16:17], v[142:143], s[56:57], v[38:39]
	v_add_f64_e32 v[20:21], v[194:195], v[20:21]
	v_add_f64_e64 v[196:197], v[196:197], -v[211:212]
	scratch_load_b64 v[211:212], off, off offset:224 th:TH_LOAD_LU ; 8-byte Folded Reload
	v_mul_f64_e32 v[194:195], s[36:37], v[104:105]
	v_mul_f64_e32 v[38:39], s[46:47], v[102:103]
	v_add_f64_e64 v[200:201], v[200:201], -v[202:203]
	v_mul_f64_e32 v[202:203], s[30:31], v[92:93]
	v_add_f64_e32 v[4:5], v[46:47], v[4:5]
	v_mul_f64_e32 v[46:47], s[56:57], v[136:137]
	v_add_f64_e32 v[12:13], v[16:17], v[12:13]
	v_add_f64_e32 v[20:21], v[192:193], v[20:21]
	v_mul_f64_e32 v[192:193], s[18:19], v[152:153]
	v_add_f64_e32 v[22:23], v[200:201], v[22:23]
	scratch_load_b64 v[200:201], off, off offset:232 th:TH_LOAD_LU ; 8-byte Folded Reload
	v_fma_f64 v[82:83], v[116:117], s[30:31], v[46:47]
	v_fma_f64 v[16:17], v[116:117], s[30:31], -v[46:47]
	v_mul_f64_e32 v[46:47], s[24:25], v[114:115]
	v_add_f64_e32 v[20:21], v[34:35], v[20:21]
	v_mul_f64_e32 v[34:35], s[18:19], v[138:139]
	v_add_f64_e32 v[192:193], v[204:205], v[192:193]
	v_add_f64_e32 v[6:7], v[82:83], v[6:7]
	v_mul_f64_e32 v[82:83], s[18:19], v[144:145]
	v_add_f64_e32 v[14:15], v[16:17], v[14:15]
	v_add_f64_e32 v[20:21], v[32:33], v[20:21]
	v_mul_f64_e32 v[32:33], s[10:11], v[164:165]
	s_delay_alu instid0(VALU_DEP_4) | instskip(SKIP_2) | instid1(VALU_DEP_4)
	v_fma_f64 v[84:85], v[160:161], s[20:21], v[82:83]
	v_fma_f64 v[16:17], v[160:161], s[46:47], v[82:83]
	v_mul_f64_e32 v[82:83], s[54:55], v[124:125]
	v_add_f64_e32 v[32:33], v[215:216], v[32:33]
	s_delay_alu instid0(VALU_DEP_4) | instskip(SKIP_2) | instid1(VALU_DEP_2)
	v_add_f64_e32 v[4:5], v[84:85], v[4:5]
	v_mul_f64_e32 v[84:85], s[46:47], v[168:169]
	v_add_f64_e32 v[12:13], v[16:17], v[12:13]
	v_fma_f64 v[86:87], v[128:129], s[18:19], v[84:85]
	v_fma_f64 v[16:17], v[128:129], s[18:19], -v[84:85]
	v_mul_f64_e32 v[84:85], s[10:11], v[132:133]
	s_delay_alu instid0(VALU_DEP_3) | instskip(SKIP_1) | instid1(VALU_DEP_4)
	v_add_f64_e32 v[6:7], v[86:87], v[6:7]
	v_mul_f64_e32 v[86:87], s[26:27], v[152:153]
	v_add_f64_e32 v[14:15], v[16:17], v[14:15]
	s_delay_alu instid0(VALU_DEP_2) | instskip(SKIP_4) | instid1(VALU_DEP_4)
	v_fma_f64 v[156:157], v[170:171], s[52:53], v[86:87]
	v_fma_f64 v[16:17], v[170:171], s[28:29], v[86:87]
	v_mul_f64_e32 v[86:87], s[6:7], v[136:137]
	s_wait_loadcnt 0x1
	v_add_f64_e64 v[202:203], v[202:203], -v[211:212]
	v_add_f64_e32 v[4:5], v[156:157], v[4:5]
	v_mul_f64_e32 v[156:157], s[28:29], v[172:173]
	v_add_f64_e32 v[12:13], v[16:17], v[12:13]
	s_delay_alu instid0(VALU_DEP_4)
	v_add_f64_e32 v[22:23], v[202:203], v[22:23]
	s_wait_loadcnt 0x0
	v_add_f64_e64 v[194:195], v[194:195], -v[200:201]
	scratch_load_b64 v[200:201], off, off offset:288 th:TH_LOAD_LU ; 8-byte Folded Reload
	v_fma_f64 v[16:17], v[138:139], s[26:27], -v[156:157]
	v_fma_f64 v[162:163], v[138:139], s[26:27], v[156:157]
	v_mul_f64_e32 v[156:157], s[36:37], v[144:145]
	v_add_f64_e32 v[22:23], v[194:195], v[22:23]
	scratch_load_b64 v[194:195], off, off offset:272 th:TH_LOAD_LU ; 8-byte Folded Reload
	v_add_f64_e32 v[16:17], v[16:17], v[14:15]
	v_fma_f64 v[14:15], v[174:175], s[58:59], v[178:179]
	v_add_f64_e32 v[162:163], v[162:163], v[6:7]
	v_fma_f64 v[6:7], v[174:175], s[24:25], v[178:179]
	v_mul_f64_e32 v[178:179], s[14:15], v[152:153]
	v_add_f64_e32 v[22:23], v[198:199], v[22:23]
	scratch_load_b64 v[198:199], off, off offset:248 th:TH_LOAD_LU ; 8-byte Folded Reload
	v_add_f64_e32 v[14:15], v[14:15], v[12:13]
	v_add_f64_e32 v[12:13], v[30:31], v[16:17]
	v_fma_f64 v[16:17], v[100:101], s[20:21], v[36:37]
	v_fma_f64 v[30:31], v[112:113], s[58:59], v[40:41]
	v_add_f64_e32 v[6:7], v[6:7], v[4:5]
	v_fma_f64 v[4:5], v[148:149], s[22:23], v[186:187]
	v_mul_f64_e32 v[186:187], s[50:51], v[172:173]
	v_fma_f64 v[36:37], v[100:101], s[46:47], v[36:37]
	v_fma_f64 v[40:41], v[112:113], s[24:25], v[40:41]
	v_add_f64_e32 v[22:23], v[196:197], v[22:23]
	v_mul_f64_e32 v[196:197], s[30:31], v[88:89]
	v_add_f64_e32 v[16:17], v[16:17], v[18:19]
	v_fma_f64 v[18:19], v[88:89], s[18:19], v[38:39]
	v_fma_f64 v[38:39], v[88:89], s[18:19], -v[38:39]
	v_add_f64_e32 v[4:5], v[4:5], v[162:163]
	v_mul_f64_e32 v[162:163], s[40:41], v[168:169]
	v_add_f64_e32 v[36:37], v[36:37], v[70:71]
	v_add_f64_e32 v[16:17], v[30:31], v[16:17]
	;; [unrolled: 1-line block ×3, first 2 shown]
	v_fma_f64 v[30:31], v[92:93], s[22:23], v[46:47]
	v_mul_f64_e32 v[48:49], s[30:31], v[120:121]
	v_add_f64_e32 v[38:39], v[38:39], v[42:43]
	v_add_f64_e32 v[36:37], v[40:41], v[36:37]
	v_fma_f64 v[40:41], v[92:93], s[22:23], -v[46:47]
	v_fma_f64 v[42:43], v[148:149], s[26:27], -v[190:191]
	v_add_f64_e32 v[18:19], v[30:31], v[18:19]
	v_fma_f64 v[30:31], v[126:127], s[56:57], v[48:49]
	s_delay_alu instid0(VALU_DEP_4) | instskip(SKIP_1) | instid1(VALU_DEP_3)
	v_add_f64_e32 v[38:39], v[40:41], v[38:39]
	v_fma_f64 v[40:41], v[126:127], s[54:55], v[48:49]
	v_add_f64_e32 v[16:17], v[30:31], v[16:17]
	v_fma_f64 v[30:31], v[104:105], s[30:31], v[82:83]
	s_delay_alu instid0(VALU_DEP_3)
	v_add_f64_e32 v[36:37], v[40:41], v[36:37]
	v_fma_f64 v[40:41], v[104:105], s[30:31], -v[82:83]
	scratch_load_b64 v[82:83], off, off offset:40 th:TH_LOAD_LU ; 8-byte Folded Reload
	v_add_f64_e32 v[18:19], v[30:31], v[18:19]
	v_fma_f64 v[30:31], v[142:143], s[44:45], v[84:85]
	v_add_f64_e32 v[38:39], v[40:41], v[38:39]
	v_fma_f64 v[40:41], v[142:143], s[6:7], v[84:85]
	s_delay_alu instid0(VALU_DEP_3) | instskip(SKIP_1) | instid1(VALU_DEP_3)
	v_add_f64_e32 v[16:17], v[30:31], v[16:17]
	v_fma_f64 v[30:31], v[116:117], s[10:11], v[86:87]
	v_add_f64_e32 v[36:37], v[40:41], v[36:37]
	v_fma_f64 v[40:41], v[116:117], s[10:11], -v[86:87]
	s_wait_loadcnt 0x2
	v_add_f64_e64 v[34:35], v[34:35], -v[194:195]
	scratch_load_b64 v[194:195], off, off offset:280 th:TH_LOAD_LU ; 8-byte Folded Reload
	v_add_f64_e32 v[18:19], v[30:31], v[18:19]
	v_fma_f64 v[30:31], v[160:161], s[48:49], v[156:157]
	v_add_f64_e32 v[38:39], v[40:41], v[38:39]
	v_fma_f64 v[40:41], v[160:161], s[40:41], v[156:157]
	s_wait_loadcnt 0x2
	v_add_f64_e64 v[196:197], v[196:197], -v[198:199]
	v_add_f64_e32 v[34:35], v[34:35], v[22:23]
	v_mul_f64_e32 v[198:199], s[36:37], v[92:93]
	v_add_f64_e32 v[16:17], v[30:31], v[16:17]
	v_fma_f64 v[30:31], v[128:129], s[36:37], v[162:163]
	v_add_f64_e32 v[36:37], v[40:41], v[36:37]
	v_fma_f64 v[40:41], v[128:129], s[36:37], -v[162:163]
	v_add_f64_e32 v[26:27], v[196:197], v[26:27]
	scratch_load_b64 v[196:197], off, off offset:304 th:TH_LOAD_LU ; 8-byte Folded Reload
	v_add_f64_e64 v[198:199], v[198:199], -v[200:201]
	v_add_f64_e32 v[18:19], v[30:31], v[18:19]
	v_fma_f64 v[30:31], v[170:171], s[16:17], v[178:179]
	v_add_f64_e32 v[38:39], v[40:41], v[38:39]
	v_fma_f64 v[40:41], v[170:171], s[50:51], v[178:179]
	v_add_f64_e32 v[26:27], v[198:199], v[26:27]
	s_delay_alu instid0(VALU_DEP_4) | instskip(SKIP_1) | instid1(VALU_DEP_4)
	v_add_f64_e32 v[16:17], v[30:31], v[16:17]
	v_fma_f64 v[30:31], v[138:139], s[14:15], v[186:187]
	v_add_f64_e32 v[36:37], v[40:41], v[36:37]
	v_fma_f64 v[40:41], v[138:139], s[14:15], -v[186:187]
	s_delay_alu instid0(VALU_DEP_3) | instskip(SKIP_1) | instid1(VALU_DEP_3)
	v_add_f64_e32 v[30:31], v[30:31], v[18:19]
	v_fma_f64 v[18:19], v[174:175], s[52:53], v[188:189]
	v_add_f64_e32 v[40:41], v[40:41], v[38:39]
	v_fma_f64 v[38:39], v[174:175], s[28:29], v[188:189]
	s_delay_alu instid0(VALU_DEP_3) | instskip(SKIP_1) | instid1(VALU_DEP_3)
	v_add_f64_e32 v[18:19], v[18:19], v[16:17]
	v_fma_f64 v[16:17], v[148:149], s[26:27], v[190:191]
	v_add_f64_e32 v[38:39], v[38:39], v[36:37]
	v_add_f64_e32 v[36:37], v[42:43], v[40:41]
	s_delay_alu instid0(VALU_DEP_3) | instskip(SKIP_1) | instid1(VALU_DEP_1)
	v_add_f64_e32 v[16:17], v[16:17], v[30:31]
	v_mul_f64_e32 v[30:31], s[26:27], v[144:145]
	v_add_f64_e32 v[30:31], v[233:234], v[30:31]
	s_delay_alu instid0(VALU_DEP_1) | instskip(SKIP_1) | instid1(VALU_DEP_2)
	v_add_f64_e32 v[20:21], v[30:31], v[20:21]
	v_mul_f64_e32 v[30:31], s[10:11], v[148:149]
	v_add_f64_e32 v[20:21], v[192:193], v[20:21]
	s_wait_loadcnt 0x1
	s_delay_alu instid0(VALU_DEP_2) | instskip(SKIP_2) | instid1(VALU_DEP_4)
	v_add_f64_e64 v[30:31], v[30:31], -v[194:195]
	v_mul_f64_e32 v[194:195], s[14:15], v[116:117]
	v_mul_f64_e32 v[192:193], s[10:11], v[128:129]
	v_add_f64_e32 v[22:23], v[32:33], v[20:21]
	s_delay_alu instid0(VALU_DEP_4)
	v_add_f64_e32 v[20:21], v[30:31], v[34:35]
	v_mul_f64_e32 v[30:31], s[10:11], v[144:145]
	v_mul_f64_e32 v[32:33], s[14:15], v[132:133]
	;; [unrolled: 1-line block ×3, first 2 shown]
	v_add_f64_e64 v[194:195], v[194:195], -v[231:232]
	v_add_f64_e64 v[192:193], v[192:193], -v[249:250]
	v_add_f64_e32 v[30:31], v[146:147], v[30:31]
	v_mul_f64_e32 v[146:147], s[30:31], v[96:97]
	v_add_f64_e32 v[32:33], v[94:95], v[32:33]
	v_mul_f64_e32 v[94:95], s[36:37], v[108:109]
	v_add_f64_e32 v[34:35], v[235:236], v[34:35]
	s_delay_alu instid0(VALU_DEP_4) | instskip(NEXT) | instid1(VALU_DEP_3)
	v_add_f64_e32 v[146:147], v[206:207], v[146:147]
	v_add_f64_e32 v[94:95], v[219:220], v[94:95]
	s_delay_alu instid0(VALU_DEP_2) | instskip(SKIP_1) | instid1(VALU_DEP_2)
	v_add_f64_e32 v[24:25], v[146:147], v[24:25]
	v_mul_f64_e32 v[146:147], s[26:27], v[104:105]
	v_add_f64_e32 v[24:25], v[94:95], v[24:25]
	s_wait_loadcnt 0x0
	s_delay_alu instid0(VALU_DEP_2) | instskip(SKIP_1) | instid1(VALU_DEP_3)
	v_add_f64_e64 v[146:147], v[146:147], -v[196:197]
	v_mul_f64_e32 v[94:95], s[22:23], v[152:153]
	v_add_f64_e32 v[24:25], v[34:35], v[24:25]
	s_delay_alu instid0(VALU_DEP_3) | instskip(NEXT) | instid1(VALU_DEP_3)
	v_add_f64_e32 v[26:27], v[146:147], v[26:27]
	v_add_f64_e32 v[94:95], v[237:238], v[94:95]
	v_mul_f64_e32 v[34:35], s[22:23], v[138:139]
	v_mul_f64_e32 v[146:147], s[26:27], v[92:93]
	v_add_f64_e32 v[24:25], v[32:33], v[24:25]
	v_add_f64_e32 v[26:27], v[194:195], v[26:27]
	v_mul_f64_e32 v[32:33], s[34:35], v[164:165]
	v_add_f64_e64 v[34:35], v[34:35], -v[223:224]
	v_add_f64_e64 v[146:147], v[146:147], -v[221:222]
	v_add_f64_e32 v[24:25], v[30:31], v[24:25]
	v_add_f64_e32 v[26:27], v[192:193], v[26:27]
	;; [unrolled: 1-line block ×3, first 2 shown]
	v_mul_f64_e32 v[30:31], s[34:35], v[148:149]
	s_delay_alu instid0(VALU_DEP_4) | instskip(NEXT) | instid1(VALU_DEP_4)
	v_add_f64_e32 v[24:25], v[94:95], v[24:25]
	v_add_f64_e32 v[34:35], v[34:35], v[26:27]
	v_mul_f64_e32 v[94:95], s[36:37], v[96:97]
	s_delay_alu instid0(VALU_DEP_4) | instskip(NEXT) | instid1(VALU_DEP_4)
	v_add_f64_e64 v[30:31], v[30:31], -v[217:218]
	v_add_f64_e32 v[26:27], v[32:33], v[24:25]
	v_mul_f64_e32 v[32:33], s[10:11], v[120:121]
	s_delay_alu instid0(VALU_DEP_4) | instskip(NEXT) | instid1(VALU_DEP_4)
	v_add_f64_e32 v[94:95], v[229:230], v[94:95]
	v_add_f64_e32 v[24:25], v[30:31], v[34:35]
	v_mul_f64_e32 v[34:35], s[26:27], v[108:109]
	v_mul_f64_e32 v[30:31], s[34:35], v[144:145]
	v_add_f64_e32 v[32:33], v[106:107], v[32:33]
	v_mul_f64_e32 v[106:107], s[34:35], v[128:129]
	v_add_f64_e32 v[0:1], v[94:95], v[0:1]
	v_add_f64_e32 v[34:35], v[247:248], v[34:35]
	v_mul_f64_e32 v[94:95], s[10:11], v[104:105]
	v_add_f64_e32 v[2:3], v[2:3], v[30:31]
	v_mul_f64_e32 v[30:31], s[18:19], v[132:133]
	v_add_f64_e64 v[106:107], v[106:107], -v[134:135]
	v_mul_f64_e32 v[134:135], s[18:19], v[116:117]
	v_add_f64_e32 v[0:1], v[34:35], v[0:1]
	v_add_f64_e64 v[94:95], v[94:95], -v[227:228]
	v_mul_f64_e32 v[34:35], s[30:31], v[152:153]
	v_add_f64_e32 v[30:31], v[150:151], v[30:31]
	;; [unrolled: 3-line block ×3, first 2 shown]
	v_mul_f64_e32 v[32:33], s[30:31], v[138:139]
	v_add_f64_e32 v[34:35], v[110:111], v[34:35]
	v_mul_f64_e32 v[110:111], s[14:15], v[92:93]
	v_add_f64_e64 v[134:135], v[134:135], -v[209:210]
	v_add_f64_e32 v[0:1], v[30:31], v[0:1]
	v_add_f64_e64 v[32:33], v[32:33], -v[253:254]
	v_mul_f64_e32 v[30:31], s[14:15], v[164:165]
	v_add_f64_e64 v[110:111], v[110:111], -v[241:242]
	v_add_f64_e32 v[28:29], v[134:135], v[28:29]
	v_add_f64_e32 v[0:1], v[2:3], v[0:1]
	s_delay_alu instid0(VALU_DEP_4) | instskip(SKIP_1) | instid1(VALU_DEP_4)
	v_add_f64_e32 v[30:31], v[98:99], v[30:31]
	v_mul_f64_e32 v[98:99], s[36:37], v[116:117]
	v_add_f64_e32 v[28:29], v[146:147], v[28:29]
	s_delay_alu instid0(VALU_DEP_4) | instskip(SKIP_1) | instid1(VALU_DEP_4)
	v_add_f64_e32 v[0:1], v[34:35], v[0:1]
	v_mul_f64_e32 v[34:35], s[14:15], v[108:109]
	v_add_f64_e64 v[98:99], v[98:99], -v[140:141]
	s_delay_alu instid0(VALU_DEP_4) | instskip(SKIP_1) | instid1(VALU_DEP_4)
	v_add_f64_e32 v[28:29], v[94:95], v[28:29]
	v_mul_f64_e32 v[94:95], s[22:23], v[128:129]
	v_add_f64_e32 v[34:35], v[122:123], v[34:35]
	s_delay_alu instid0(VALU_DEP_3) | instskip(SKIP_1) | instid1(VALU_DEP_4)
	v_add_f64_e32 v[28:29], v[90:91], v[28:29]
	v_mul_f64_e32 v[90:91], s[34:35], v[96:97]
	v_add_f64_e64 v[94:95], v[94:95], -v[180:181]
	s_delay_alu instid0(VALU_DEP_3) | instskip(SKIP_3) | instid1(VALU_DEP_4)
	v_add_f64_e32 v[2:3], v[106:107], v[28:29]
	v_mul_f64_e32 v[28:29], s[14:15], v[148:149]
	v_mul_f64_e32 v[106:107], s[34:35], v[88:89]
	v_add_f64_e32 v[90:91], v[251:252], v[90:91]
	v_add_f64_e32 v[32:33], v[32:33], v[2:3]
	s_delay_alu instid0(VALU_DEP_4) | instskip(NEXT) | instid1(VALU_DEP_4)
	v_add_f64_e64 v[28:29], v[28:29], -v[245:246]
	v_add_f64_e64 v[106:107], v[106:107], -v[225:226]
	v_add_f64_e32 v[2:3], v[30:31], v[0:1]
	v_add_f64_e32 v[76:77], v[90:91], v[76:77]
	v_mul_f64_e32 v[90:91], s[18:19], v[104:105]
	v_mul_f64_e32 v[30:31], s[36:37], v[132:133]
	v_add_f64_e32 v[0:1], v[28:29], v[32:33]
	v_mul_f64_e32 v[32:33], s[18:19], v[120:121]
	v_add_f64_e32 v[78:79], v[106:107], v[78:79]
	v_add_f64_e32 v[34:35], v[34:35], v[76:77]
	v_add_f64_e64 v[90:91], v[90:91], -v[243:244]
	v_mul_f64_e32 v[28:29], s[22:23], v[144:145]
	v_add_f64_e32 v[30:31], v[182:183], v[30:31]
	v_add_f64_e32 v[32:33], v[158:159], v[32:33]
	;; [unrolled: 1-line block ×3, first 2 shown]
	v_mul_f64_e32 v[78:79], s[10:11], v[152:153]
	v_add_f64_e32 v[28:29], v[184:185], v[28:29]
	s_delay_alu instid0(VALU_DEP_4) | instskip(NEXT) | instid1(VALU_DEP_4)
	v_add_f64_e32 v[32:33], v[32:33], v[34:35]
	v_add_f64_e32 v[34:35], v[90:91], v[76:77]
	v_mul_f64_e32 v[76:77], s[10:11], v[138:139]
	v_add_f64_e32 v[78:79], v[166:167], v[78:79]
	s_delay_alu instid0(VALU_DEP_4) | instskip(NEXT) | instid1(VALU_DEP_4)
	v_add_f64_e32 v[30:31], v[30:31], v[32:33]
	v_add_f64_e32 v[32:33], v[98:99], v[34:35]
	s_delay_alu instid0(VALU_DEP_4)
	v_add_f64_e64 v[76:77], v[76:77], -v[130:131]
	v_mul_f64_e32 v[34:35], s[30:31], v[164:165]
	v_mul_f64_e32 v[130:131], s[18:19], v[164:165]
	v_add_f64_e32 v[28:29], v[28:29], v[30:31]
	v_add_f64_e32 v[30:31], v[94:95], v[32:33]
	v_mul_f64_e32 v[32:33], s[30:31], v[148:149]
	v_add_f64_e32 v[34:35], v[154:155], v[34:35]
	s_delay_alu instid0(VALU_DEP_4) | instskip(NEXT) | instid1(VALU_DEP_4)
	v_add_f64_e32 v[28:29], v[78:79], v[28:29]
	v_add_f64_e32 v[76:77], v[76:77], v[30:31]
	s_delay_alu instid0(VALU_DEP_4) | instskip(NEXT) | instid1(VALU_DEP_3)
	v_add_f64_e64 v[32:33], v[32:33], -v[118:119]
	v_add_f64_e32 v[30:31], v[34:35], v[28:29]
	s_delay_alu instid0(VALU_DEP_2) | instskip(SKIP_1) | instid1(VALU_DEP_1)
	v_add_f64_e32 v[28:29], v[32:33], v[76:77]
	v_mul_f64_e32 v[76:77], s[26:27], v[96:97]
	v_fma_f64 v[32:33], v[100:101], s[52:53], v[76:77]
	v_fma_f64 v[40:41], v[100:101], s[28:29], v[76:77]
	;; [unrolled: 1-line block ×3, first 2 shown]
	s_delay_alu instid0(VALU_DEP_3) | instskip(SKIP_1) | instid1(VALU_DEP_4)
	v_add_f64_e32 v[32:33], v[32:33], v[74:75]
	v_mul_f64_e32 v[74:75], s[52:53], v[102:103]
	v_add_f64_e32 v[40:41], v[40:41], v[72:73]
	s_delay_alu instid0(VALU_DEP_2)
	v_fma_f64 v[34:35], v[88:89], s[26:27], -v[74:75]
	v_fma_f64 v[72:73], v[88:89], s[26:27], v[74:75]
	scratch_load_b64 v[74:75], off, off offset:104 th:TH_LOAD_LU ; 8-byte Folded Reload
	v_add_f64_e32 v[34:35], v[34:35], v[44:45]
	v_mul_f64_e32 v[44:45], s[10:11], v[108:109]
	v_add_f64_e32 v[50:51], v[72:73], v[50:51]
	scratch_load_b64 v[72:73], off, off offset:56 th:TH_LOAD_LU ; 8-byte Folded Reload
	v_fma_f64 v[78:79], v[112:113], s[6:7], v[44:45]
	v_fma_f64 v[44:45], v[112:113], s[44:45], v[44:45]
	s_delay_alu instid0(VALU_DEP_2) | instskip(SKIP_1) | instid1(VALU_DEP_3)
	v_add_f64_e32 v[32:33], v[78:79], v[32:33]
	v_mul_f64_e32 v[78:79], s[6:7], v[114:115]
	v_add_f64_e32 v[40:41], v[44:45], v[40:41]
	s_delay_alu instid0(VALU_DEP_2)
	v_fma_f64 v[90:91], v[92:93], s[10:11], -v[78:79]
	v_fma_f64 v[44:45], v[92:93], s[10:11], v[78:79]
	scratch_load_b64 v[78:79], off, off offset:8 th:TH_LOAD_LU ; 8-byte Folded Reload
	v_add_f64_e32 v[34:35], v[90:91], v[34:35]
	v_mul_f64_e32 v[90:91], s[34:35], v[120:121]
	v_add_f64_e32 v[44:45], v[44:45], v[50:51]
	s_delay_alu instid0(VALU_DEP_2) | instskip(SKIP_1) | instid1(VALU_DEP_2)
	v_fma_f64 v[94:95], v[126:127], s[42:43], v[90:91]
	v_fma_f64 v[70:71], v[126:127], s[38:39], v[90:91]
	v_add_f64_e32 v[32:33], v[94:95], v[32:33]
	v_mul_f64_e32 v[94:95], s[42:43], v[124:125]
	s_delay_alu instid0(VALU_DEP_3) | instskip(SKIP_4) | instid1(VALU_DEP_2)
	v_add_f64_e32 v[40:41], v[70:71], v[40:41]
	v_mul_f64_e32 v[124:125], s[46:47], v[176:177]
	scratch_load_b64 v[70:71], off, off offset:80 th:TH_LOAD_LU ; 8-byte Folded Reload
	v_fma_f64 v[98:99], v[104:105], s[34:35], -v[94:95]
	v_fma_f64 v[50:51], v[104:105], s[34:35], v[94:95]
	v_add_f64_e32 v[34:35], v[98:99], v[34:35]
	v_mul_f64_e32 v[98:99], s[22:23], v[132:133]
	s_delay_alu instid0(VALU_DEP_3) | instskip(SKIP_3) | instid1(VALU_DEP_2)
	v_add_f64_e32 v[44:45], v[50:51], v[44:45]
	scratch_load_b64 v[50:51], off, off offset:96 th:TH_LOAD_LU ; 8-byte Folded Reload
	v_fma_f64 v[102:103], v[142:143], s[58:59], v[98:99]
	v_fma_f64 v[48:49], v[142:143], s[24:25], v[98:99]
	v_add_f64_e32 v[32:33], v[102:103], v[32:33]
	v_mul_f64_e32 v[102:103], s[58:59], v[136:137]
	s_delay_alu instid0(VALU_DEP_3) | instskip(NEXT) | instid1(VALU_DEP_2)
	v_add_f64_e32 v[40:41], v[48:49], v[40:41]
	v_fma_f64 v[106:107], v[116:117], s[22:23], -v[102:103]
	v_fma_f64 v[48:49], v[116:117], s[22:23], v[102:103]
	s_delay_alu instid0(VALU_DEP_2) | instskip(SKIP_1) | instid1(VALU_DEP_3)
	v_add_f64_e32 v[34:35], v[106:107], v[34:35]
	v_mul_f64_e32 v[106:107], s[14:15], v[144:145]
	v_add_f64_e32 v[44:45], v[48:49], v[44:45]
	scratch_load_b64 v[48:49], off, off offset:112 th:TH_LOAD_LU ; 8-byte Folded Reload
	v_fma_f64 v[110:111], v[160:161], s[16:17], v[106:107]
	v_fma_f64 v[46:47], v[160:161], s[50:51], v[106:107]
	s_delay_alu instid0(VALU_DEP_2) | instskip(SKIP_1) | instid1(VALU_DEP_3)
	v_add_f64_e32 v[32:33], v[110:111], v[32:33]
	v_mul_f64_e32 v[110:111], s[16:17], v[168:169]
	v_add_f64_e32 v[40:41], v[46:47], v[40:41]
	s_delay_alu instid0(VALU_DEP_2) | instskip(SKIP_1) | instid1(VALU_DEP_2)
	v_fma_f64 v[114:115], v[128:129], s[14:15], -v[110:111]
	v_fma_f64 v[46:47], v[128:129], s[14:15], v[110:111]
	v_add_f64_e32 v[34:35], v[114:115], v[34:35]
	v_mul_f64_e32 v[114:115], s[36:37], v[152:153]
	s_delay_alu instid0(VALU_DEP_3) | instskip(SKIP_1) | instid1(VALU_DEP_3)
	v_add_f64_e32 v[44:45], v[46:47], v[44:45]
	v_fma_f64 v[46:47], v[148:149], s[18:19], v[124:125]
	v_fma_f64 v[118:119], v[170:171], s[40:41], v[114:115]
	;; [unrolled: 1-line block ×3, first 2 shown]
	s_delay_alu instid0(VALU_DEP_2) | instskip(SKIP_1) | instid1(VALU_DEP_3)
	v_add_f64_e32 v[32:33], v[118:119], v[32:33]
	v_mul_f64_e32 v[118:119], s[40:41], v[172:173]
	v_add_f64_e32 v[40:41], v[42:43], v[40:41]
	s_delay_alu instid0(VALU_DEP_2) | instskip(SKIP_1) | instid1(VALU_DEP_2)
	v_fma_f64 v[42:43], v[138:139], s[36:37], v[118:119]
	v_fma_f64 v[122:123], v[138:139], s[36:37], -v[118:119]
	v_add_f64_e32 v[44:45], v[42:43], v[44:45]
	s_delay_alu instid0(VALU_DEP_4)
	v_add_f64_e32 v[42:43], v[76:77], v[40:41]
	scratch_load_b64 v[76:77], off, off offset:88 th:TH_LOAD_LU ; 8-byte Folded Reload
	v_add_f64_e32 v[122:123], v[122:123], v[34:35]
	v_fma_f64 v[34:35], v[174:175], s[46:47], v[130:131]
	v_add_f64_e32 v[40:41], v[46:47], v[44:45]
	scratch_load_b64 v[46:47], off, off offset:128 th:TH_LOAD_LU ; 8-byte Folded Reload
	v_mul_f64_e32 v[44:45], s[30:31], v[144:145]
	v_add_f64_e32 v[34:35], v[34:35], v[32:33]
	v_fma_f64 v[32:33], v[148:149], s[18:19], -v[124:125]
	s_delay_alu instid0(VALU_DEP_1) | instskip(SKIP_1) | instid1(VALU_DEP_4)
	v_add_f64_e32 v[32:33], v[32:33], v[122:123]
	s_wait_loadcnt 0x0
	v_add_f64_e32 v[44:45], v[46:47], v[44:45]
	v_mul_f64_e32 v[46:47], s[26:27], v[132:133]
	s_delay_alu instid0(VALU_DEP_1) | instskip(SKIP_1) | instid1(VALU_DEP_1)
	v_add_f64_e32 v[46:47], v[48:49], v[46:47]
	v_mul_f64_e32 v[48:49], s[22:23], v[120:121]
	v_add_f64_e32 v[48:49], v[50:51], v[48:49]
	v_mul_f64_e32 v[50:51], s[18:19], v[108:109]
	s_delay_alu instid0(VALU_DEP_1) | instskip(SKIP_1) | instid1(VALU_DEP_1)
	v_add_f64_e32 v[50:51], v[70:71], v[50:51]
	v_mul_f64_e32 v[70:71], s[14:15], v[96:97]
	v_add_f64_e32 v[70:71], v[72:73], v[70:71]
	v_mul_f64_e32 v[72:73], s[30:31], v[128:129]
	s_delay_alu instid0(VALU_DEP_2)
	v_add_f64_e32 v[70:71], v[70:71], v[80:81]
	scratch_load_b64 v[80:81], off, off offset:72 th:TH_LOAD_LU ; 8-byte Folded Reload
	v_add_f64_e64 v[72:73], v[72:73], -v[74:75]
	v_mul_f64_e32 v[74:75], s[26:27], v[116:117]
	v_add_f64_e32 v[50:51], v[50:51], v[70:71]
	v_mul_f64_e32 v[70:71], s[34:35], v[152:153]
	s_delay_alu instid0(VALU_DEP_3) | instskip(SKIP_1) | instid1(VALU_DEP_4)
	v_add_f64_e64 v[74:75], v[74:75], -v[76:77]
	v_mul_f64_e32 v[76:77], s[14:15], v[88:89]
	v_add_f64_e32 v[48:49], v[48:49], v[50:51]
	s_delay_alu instid0(VALU_DEP_2) | instskip(SKIP_1) | instid1(VALU_DEP_3)
	v_add_f64_e64 v[76:77], v[76:77], -v[78:79]
	v_mul_f64_e32 v[78:79], s[18:19], v[92:93]
	v_add_f64_e32 v[46:47], v[46:47], v[48:49]
	s_delay_alu instid0(VALU_DEP_3) | instskip(NEXT) | instid1(VALU_DEP_3)
	v_add_f64_e32 v[68:69], v[76:77], v[68:69]
	v_add_f64_e64 v[78:79], v[78:79], -v[82:83]
	v_mul_f64_e32 v[76:77], s[22:23], v[104:105]
	s_delay_alu instid0(VALU_DEP_4) | instskip(NEXT) | instid1(VALU_DEP_3)
	v_add_f64_e32 v[44:45], v[44:45], v[46:47]
	v_add_f64_e32 v[68:69], v[78:79], v[68:69]
	scratch_load_b64 v[78:79], off, off offset:144 th:TH_LOAD_LU ; 8-byte Folded Reload
	s_wait_loadcnt 0x1
	v_add_f64_e64 v[76:77], v[76:77], -v[80:81]
	s_delay_alu instid0(VALU_DEP_1)
	v_add_f64_e32 v[50:51], v[76:77], v[68:69]
	scratch_load_b64 v[76:77], off, off offset:120 th:TH_LOAD_LU ; 8-byte Folded Reload
	v_mul_f64_e32 v[68:69], s[34:35], v[138:139]
	v_add_f64_e32 v[48:49], v[74:75], v[50:51]
	scratch_load_b64 v[74:75], off, off offset:184 th:TH_LOAD_LU ; 8-byte Folded Reload
	v_mul_f64_e32 v[50:51], s[36:37], v[164:165]
	;; [unrolled: 3-line block ×3, first 2 shown]
	s_wait_loadcnt 0x3
	v_add_f64_e32 v[70:71], v[78:79], v[70:71]
	s_delay_alu instid0(VALU_DEP_1) | instskip(SKIP_4) | instid1(VALU_DEP_2)
	v_add_f64_e32 v[44:45], v[70:71], v[44:45]
	s_wait_loadcnt 0x2
	v_add_f64_e64 v[68:69], v[68:69], -v[76:77]
	s_wait_loadcnt 0x1
	v_add_f64_e32 v[50:51], v[74:75], v[50:51]
	v_add_f64_e32 v[68:69], v[68:69], v[46:47]
	s_wait_loadcnt 0x0
	v_add_f64_e64 v[48:49], v[48:49], -v[72:73]
	s_delay_alu instid0(VALU_DEP_3) | instskip(NEXT) | instid1(VALU_DEP_2)
	v_add_f64_e32 v[46:47], v[50:51], v[44:45]
	v_add_f64_e32 v[44:45], v[48:49], v[68:69]
	scratch_load_b32 v48, off, off          ; 4-byte Folded Reload
	s_wait_loadcnt 0x0
	v_mul_lo_u16 v48, v48, 17
	s_delay_alu instid0(VALU_DEP_1) | instskip(NEXT) | instid1(VALU_DEP_1)
	v_and_b32_e32 v48, 0xffff, v48
	v_add_lshl_u32 v48, v255, v48, 4
	ds_store_b128 v48, v[20:23] offset:32
	ds_store_b128 v48, v[60:63] offset:192
	;; [unrolled: 1-line block ×15, first 2 shown]
	ds_store_b128 v48, v[8:11]
	scratch_load_b128 v[0:3], off, off offset:24 ; 16-byte Folded Reload
	s_wait_loadcnt 0x0
	ds_store_b128 v48, v[0:3] offset:256
.LBB0_7:
	s_wait_alu 0xfffe
	s_or_b32 exec_lo, exec_lo, s0
	scratch_load_b32 v0, off, off           ; 4-byte Folded Reload
	global_wb scope:SCOPE_SE
	s_wait_loadcnt_dscnt 0x0
	s_barrier_signal -1
	s_barrier_wait -1
	global_inv scope:SCOPE_SE
	v_add_lshl_u32 v208, v255, v0, 4
	v_cmp_gt_u16_e64 s0, 34, v0
	ds_load_b128 v[68:71], v208
	ds_load_b128 v[72:75], v208 offset:1088
	ds_load_b128 v[96:99], v208 offset:7616
	;; [unrolled: 1-line block ×11, first 2 shown]
	s_and_saveexec_b32 s1, s0
	s_cbranch_execz .LBB0_9
; %bb.8:
	ds_load_b128 v[60:63], v208 offset:3264
	ds_load_b128 v[64:67], v208 offset:7072
	;; [unrolled: 1-line block ×4, first 2 shown]
.LBB0_9:
	s_wait_alu 0xfffe
	s_or_b32 exec_lo, exec_lo, s1
	scratch_load_b32 v4, off, off           ; 4-byte Folded Reload
	s_wait_loadcnt 0x0
	v_and_b32_e32 v0, 0xff, v4
	v_add_nc_u16 v1, v4, 0x44
	v_add_nc_u16 v8, v4, 0x88
	v_add_nc_u16 v9, v4, 0xcc
	s_delay_alu instid0(VALU_DEP_4) | instskip(NEXT) | instid1(VALU_DEP_4)
	v_mul_lo_u16 v0, 0xf1, v0
	v_and_b32_e32 v2, 0xff, v1
	s_delay_alu instid0(VALU_DEP_4) | instskip(NEXT) | instid1(VALU_DEP_3)
	v_and_b32_e32 v10, 0xff, v8
	v_lshrrev_b16 v16, 12, v0
	s_delay_alu instid0(VALU_DEP_3) | instskip(NEXT) | instid1(VALU_DEP_3)
	v_mul_lo_u16 v0, 0xf1, v2
	v_mul_lo_u16 v2, 0xf1, v10
	s_delay_alu instid0(VALU_DEP_3) | instskip(NEXT) | instid1(VALU_DEP_3)
	v_mul_lo_u16 v3, v16, 17
	v_lshrrev_b16 v17, 12, v0
	s_delay_alu instid0(VALU_DEP_3) | instskip(SKIP_1) | instid1(VALU_DEP_4)
	v_lshrrev_b16 v18, 12, v2
	v_and_b32_e32 v16, 0xffff, v16
	v_sub_nc_u16 v0, v4, v3
	s_delay_alu instid0(VALU_DEP_4) | instskip(NEXT) | instid1(VALU_DEP_4)
	v_mul_lo_u16 v2, v17, 17
	v_mul_lo_u16 v3, v18, 17
	v_and_b32_e32 v4, 0xffff, v9
	v_and_b32_e32 v17, 0xffff, v17
	;; [unrolled: 1-line block ×3, first 2 shown]
	v_sub_nc_u16 v2, v1, v2
	v_sub_nc_u16 v3, v8, v3
	v_mul_u32_u24_e32 v11, 0xf0f1, v4
	v_and_b32_e32 v18, 0xffff, v18
	v_mad_co_u64_u32 v[0:1], null, v19, 48, s[2:3]
	v_and_b32_e32 v20, 0xff, v2
	v_and_b32_e32 v21, 0xff, v3
	v_lshrrev_b32_e32 v22, 20, v11
	v_mul_u32_u24_e32 v16, 0x44, v16
	v_mul_u32_u24_e32 v17, 0x44, v17
	v_mad_co_u64_u32 v[2:3], null, v20, 48, s[2:3]
	v_mad_co_u64_u32 v[4:5], null, v21, 48, s[2:3]
	s_clause 0x8
	global_load_b128 v[28:31], v[0:1], off offset:16
	global_load_b128 v[48:51], v[0:1], off
	global_load_b128 v[44:47], v[0:1], off offset:32
	global_load_b128 v[40:43], v[2:3], off
	global_load_b128 v[36:39], v[2:3], off offset:16
	global_load_b128 v[32:35], v[2:3], off offset:32
	global_load_b128 v[24:27], v[4:5], off
	global_load_b128 v[160:163], v[4:5], off offset:16
	global_load_b128 v[156:159], v[4:5], off offset:32
	v_mul_lo_u16 v0, v22, 17
	v_mul_u32_u24_e32 v18, 0x44, v18
	v_add_nc_u32_e32 v16, v16, v19
	v_add_nc_u32_e32 v17, v17, v20
	s_delay_alu instid0(VALU_DEP_4) | instskip(NEXT) | instid1(VALU_DEP_4)
	v_sub_nc_u16 v23, v9, v0
	v_add_nc_u32_e32 v18, v18, v21
	s_delay_alu instid0(VALU_DEP_3) | instskip(NEXT) | instid1(VALU_DEP_3)
	v_add_lshl_u32 v17, v255, v17, 4
	v_mul_lo_u16 v0, v23, 48
	v_mad_u16 v19, 0x44, v22, v23
	s_delay_alu instid0(VALU_DEP_2) | instskip(NEXT) | instid1(VALU_DEP_1)
	v_and_b32_e32 v0, 0xffff, v0
	v_add_co_u32 v0, s1, s2, v0
	s_wait_alu 0xf1ff
	v_add_co_ci_u32_e64 v1, null, s3, 0, s1
	s_clause 0x2
	global_load_b128 v[152:155], v[0:1], off
	global_load_b128 v[148:151], v[0:1], off offset:16
	global_load_b128 v[144:147], v[0:1], off offset:32
	s_load_b128 s[4:7], s[4:5], 0x0
	scratch_store_b32 off, v19, off offset:72 ; 4-byte Folded Spill
	v_add_lshl_u32 v19, v255, v16, 4
	v_add_lshl_u32 v16, v255, v18, 4
	s_wait_loadcnt_dscnt 0xb09
	v_mul_f64_e32 v[4:5], v[98:99], v[30:31]
	s_wait_loadcnt_dscnt 0xa07
	v_mul_f64_e32 v[0:1], v[110:111], v[50:51]
	v_mul_f64_e32 v[2:3], v[108:109], v[50:51]
	;; [unrolled: 1-line block ×3, first 2 shown]
	s_wait_loadcnt_dscnt 0x903
	v_mul_f64_e32 v[12:13], v[114:115], v[46:47]
	v_mul_f64_e32 v[14:15], v[112:113], v[46:47]
	s_wait_loadcnt 0x8
	v_mul_f64_e32 v[116:117], v[102:103], v[42:43]
	v_mul_f64_e32 v[118:119], v[100:101], v[42:43]
	s_wait_loadcnt_dscnt 0x601
	v_mul_f64_e32 v[124:125], v[106:107], v[34:35]
	v_mul_f64_e32 v[126:127], v[104:105], v[34:35]
	s_wait_loadcnt 0x4
	v_mul_f64_e32 v[132:133], v[90:91], v[162:163]
	v_mul_f64_e32 v[120:121], v[82:83], v[38:39]
	;; [unrolled: 1-line block ×6, first 2 shown]
	s_wait_loadcnt_dscnt 0x300
	v_mul_f64_e32 v[136:137], v[94:95], v[158:159]
	v_mul_f64_e32 v[138:139], v[92:93], v[158:159]
	s_clause 0x2
	scratch_store_b128 off, v[24:27], off offset:144
	scratch_store_b128 off, v[160:163], off offset:56
	;; [unrolled: 1-line block ×3, first 2 shown]
	s_wait_loadcnt 0x2
	v_mul_f64_e32 v[140:141], v[66:67], v[154:155]
	v_mul_f64_e32 v[142:143], v[64:65], v[154:155]
	scratch_store_b128 off, v[152:155], off offset:200 ; 16-byte Folded Spill
	s_wait_loadcnt 0x1
	scratch_store_b128 off, v[148:151], off offset:184 ; 16-byte Folded Spill
	s_wait_loadcnt 0x0
	scratch_store_b128 off, v[144:147], off offset:168 ; 16-byte Folded Spill
	v_fma_f64 v[4:5], v[96:97], v[28:29], -v[4:5]
	v_fma_f64 v[0:1], v[108:109], v[48:49], -v[0:1]
	v_fma_f64 v[2:3], v[110:111], v[48:49], v[2:3]
	v_fma_f64 v[6:7], v[98:99], v[28:29], v[6:7]
	v_fma_f64 v[12:13], v[112:113], v[44:45], -v[12:13]
	v_fma_f64 v[14:15], v[114:115], v[44:45], v[14:15]
	v_fma_f64 v[96:97], v[100:101], v[40:41], -v[116:117]
	;; [unrolled: 2-line block ×4, first 2 shown]
	v_mul_f64_e32 v[104:105], v[58:59], v[150:151]
	v_mul_f64_e32 v[106:107], v[56:57], v[150:151]
	;; [unrolled: 1-line block ×4, first 2 shown]
	v_fma_f64 v[80:81], v[80:81], v[36:37], -v[120:121]
	v_fma_f64 v[82:83], v[82:83], v[36:37], v[122:123]
	v_fma_f64 v[84:85], v[84:85], v[24:25], -v[128:129]
	v_fma_f64 v[86:87], v[86:87], v[24:25], v[130:131]
	v_fma_f64 v[90:91], v[90:91], v[160:161], v[134:135]
	v_fma_f64 v[92:93], v[92:93], v[156:157], -v[136:137]
	v_fma_f64 v[94:95], v[94:95], v[156:157], v[138:139]
	global_wb scope:SCOPE_SE
	s_wait_storecnt 0x0
	s_wait_kmcnt 0x0
	s_barrier_signal -1
	s_barrier_wait -1
	global_inv scope:SCOPE_SE
	v_fma_f64 v[112:113], v[64:65], v[152:153], -v[140:141]
	v_fma_f64 v[114:115], v[66:67], v[152:153], v[142:143]
	v_add_f64_e64 v[116:117], v[68:69], -v[4:5]
	v_add_f64_e64 v[118:119], v[70:71], -v[6:7]
	;; [unrolled: 1-line block ×7, first 2 shown]
	v_fma_f64 v[12:13], v[56:57], v[148:149], -v[104:105]
	v_fma_f64 v[14:15], v[58:59], v[148:149], v[106:107]
	v_fma_f64 v[52:53], v[52:53], v[144:145], -v[108:109]
	v_fma_f64 v[54:55], v[54:55], v[144:145], v[110:111]
	v_add_f64_e64 v[80:81], v[72:73], -v[80:81]
	v_add_f64_e64 v[120:121], v[74:75], -v[82:83]
	v_add_f64_e64 v[100:101], v[78:79], -v[90:91]
	v_add_f64_e64 v[82:83], v[84:85], -v[92:93]
	v_add_f64_e64 v[90:91], v[86:87], -v[94:95]
	v_fma_f64 v[92:93], v[68:69], 2.0, -v[116:117]
	v_fma_f64 v[94:95], v[70:71], 2.0, -v[118:119]
	;; [unrolled: 1-line block ×7, first 2 shown]
	v_add_f64_e64 v[0:1], v[60:61], -v[12:13]
	v_add_f64_e64 v[2:3], v[62:63], -v[14:15]
	;; [unrolled: 1-line block ×4, first 2 shown]
	v_fma_f64 v[102:103], v[72:73], 2.0, -v[80:81]
	v_fma_f64 v[104:105], v[74:75], 2.0, -v[120:121]
	v_add_f64_e64 v[12:13], v[116:117], -v[6:7]
	v_add_f64_e32 v[14:15], v[118:119], v[4:5]
	v_fma_f64 v[98:99], v[78:79], 2.0, -v[100:101]
	v_fma_f64 v[72:73], v[84:85], 2.0, -v[82:83]
	;; [unrolled: 1-line block ×3, first 2 shown]
	v_add_f64_e64 v[52:53], v[80:81], -v[66:67]
	v_add_f64_e32 v[54:55], v[120:121], v[64:65]
	v_add_f64_e64 v[64:65], v[88:89], -v[90:91]
	v_add_f64_e32 v[66:67], v[100:101], v[82:83]
	v_add_f64_e64 v[56:57], v[92:93], -v[56:57]
	v_add_f64_e64 v[58:59], v[94:95], -v[58:59]
	v_fma_f64 v[4:5], v[60:61], 2.0, -v[0:1]
	v_fma_f64 v[6:7], v[62:63], 2.0, -v[2:3]
	;; [unrolled: 1-line block ×4, first 2 shown]
	v_add_f64_e64 v[68:69], v[102:103], -v[68:69]
	v_add_f64_e64 v[70:71], v[104:105], -v[70:71]
	;; [unrolled: 1-line block ×3, first 2 shown]
	v_fma_f64 v[60:61], v[116:117], 2.0, -v[12:13]
	v_fma_f64 v[62:63], v[118:119], 2.0, -v[14:15]
	v_add_f64_e64 v[72:73], v[96:97], -v[72:73]
	v_add_f64_e64 v[74:75], v[98:99], -v[74:75]
	v_fma_f64 v[76:77], v[80:81], 2.0, -v[52:53]
	v_fma_f64 v[78:79], v[120:121], 2.0, -v[54:55]
	v_add_f64_e32 v[126:127], v[2:3], v[106:107]
	v_fma_f64 v[84:85], v[88:89], 2.0, -v[64:65]
	v_fma_f64 v[86:87], v[100:101], 2.0, -v[66:67]
	;; [unrolled: 1-line block ×4, first 2 shown]
	ds_store_b128 v19, v[56:59] offset:544
	ds_store_b128 v19, v[12:15] offset:816
	ds_store_b128 v19, v[80:83]
	v_add_f64_e64 v[128:129], v[4:5], -v[108:109]
	v_add_f64_e64 v[130:131], v[6:7], -v[110:111]
	v_fma_f64 v[92:93], v[96:97], 2.0, -v[72:73]
	v_fma_f64 v[94:95], v[98:99], 2.0, -v[74:75]
	;; [unrolled: 1-line block ×4, first 2 shown]
	scratch_store_b32 off, v19, off offset:96 ; 4-byte Folded Spill
	ds_store_b128 v19, v[60:63] offset:272
	ds_store_b128 v17, v[68:71] offset:544
	;; [unrolled: 1-line block ×3, first 2 shown]
	ds_store_b128 v17, v[88:91]
	scratch_store_b32 off, v17, off offset:88 ; 4-byte Folded Spill
	ds_store_b128 v17, v[76:79] offset:272
	ds_store_b128 v16, v[92:95]
	ds_store_b128 v16, v[84:87] offset:272
	ds_store_b128 v16, v[72:75] offset:544
	scratch_store_b32 off, v16, off offset:80 ; 4-byte Folded Spill
	ds_store_b128 v16, v[64:67] offset:816
	s_mov_b32 s1, exec_lo
	scratch_load_b128 v[245:248], off, off offset:24 ; 16-byte Folded Reload
	s_wait_alu 0xfffe
	s_and_b32 s10, s1, s0
	s_wait_alu 0xfffe
	s_mov_b32 exec_lo, s10
	s_cbranch_execz .LBB0_11
; %bb.10:
	scratch_load_b32 v12, off, off offset:72 ; 4-byte Folded Reload
	v_fma_f64 v[6:7], v[6:7], 2.0, -v[130:131]
	v_fma_f64 v[4:5], v[4:5], 2.0, -v[128:129]
	;; [unrolled: 1-line block ×4, first 2 shown]
	s_wait_loadcnt 0x0
	v_and_b32_e32 v12, 0xffff, v12
	s_delay_alu instid0(VALU_DEP_1)
	v_add_lshl_u32 v12, v255, v12, 4
	ds_store_b128 v12, v[4:7]
	ds_store_b128 v12, v[0:3] offset:272
	ds_store_b128 v12, v[128:131] offset:544
	ds_store_b128 v12, v[124:127] offset:816
.LBB0_11:
	s_or_b32 exec_lo, exec_lo, s1
	global_wb scope:SCOPE_SE
	s_wait_storecnt 0x0
	s_wait_loadcnt_dscnt 0x0
	s_barrier_signal -1
	scratch_load_b32 v22, off, off          ; 4-byte Folded Reload
	v_mul_lo_u16 v4, 0x79, v10
	v_lshrrev_b32_e32 v7, 22, v11
	s_barrier_wait -1
	s_wait_loadcnt 0x0
	global_inv scope:SCOPE_SE
	s_mov_b32 s10, 0x36b3c0b5
	v_lshrrev_b16 v4, 13, v4
	v_mul_lo_u16 v7, 0x44, v7
	s_mov_b32 s14, 0xe976ee23
	s_mov_b32 s16, 0x429ad128
	s_mov_b32 s11, 0x3fac98ee
	v_mul_lo_u16 v4, 0x44, v4
	v_sub_nc_u16 v7, v9, v7
	s_mov_b32 s15, 0xbfe11646
	s_mov_b32 s17, 0x3febfeb5
	;; [unrolled: 1-line block ×3, first 2 shown]
	v_sub_nc_u16 v4, v8, v4
	v_and_b32_e32 v17, 0xffff, v7
	s_mov_b32 s20, 0xb247c609
	s_mov_b32 s19, 0xbff2aaaa
	;; [unrolled: 1-line block ×3, first 2 shown]
	v_and_b32_e32 v16, 0xff, v4
	v_add_lshl_u32 v23, v255, v17, 4
	s_mov_b32 s23, 0xbfd5d0dc
	s_wait_alu 0xfffe
	s_mov_b32 s22, s20
	v_add_nc_u32_e32 v0, 0x110, v22
	v_add_nc_u32_e32 v1, 0x154, v22
	;; [unrolled: 1-line block ×3, first 2 shown]
	v_lshlrev_b32_e32 v21, 4, v22
	v_mad_co_u64_u32 v[132:133], null, 0x60, v22, s[2:3]
	v_and_b32_e32 v3, 0xffff, v0
	v_and_b32_e32 v5, 0xffff, v1
	;; [unrolled: 1-line block ×3, first 2 shown]
	global_load_b128 v[52:55], v21, s[2:3] offset:816
	v_mul_u32_u24_e32 v3, 0xf0f1, v3
	v_mul_u32_u24_e32 v5, 0xf0f1, v5
	v_mul_u32_u24_e32 v6, 0xf0f1, v6
	s_delay_alu instid0(VALU_DEP_3) | instskip(NEXT) | instid1(VALU_DEP_3)
	v_lshrrev_b32_e32 v3, 22, v3
	v_lshrrev_b32_e32 v5, 22, v5
	s_delay_alu instid0(VALU_DEP_3) | instskip(NEXT) | instid1(VALU_DEP_3)
	v_lshrrev_b32_e32 v6, 22, v6
	v_mul_lo_u16 v3, 0x44, v3
	s_delay_alu instid0(VALU_DEP_3) | instskip(NEXT) | instid1(VALU_DEP_3)
	v_mul_lo_u16 v5, 0x44, v5
	v_mul_lo_u16 v6, 0x44, v6
	s_delay_alu instid0(VALU_DEP_3) | instskip(NEXT) | instid1(VALU_DEP_3)
	v_sub_nc_u16 v0, v0, v3
	v_sub_nc_u16 v1, v1, v5
	s_delay_alu instid0(VALU_DEP_3) | instskip(NEXT) | instid1(VALU_DEP_3)
	v_sub_nc_u16 v2, v2, v6
	v_and_b32_e32 v18, 0xffff, v0
	v_lshlrev_b32_e32 v0, 4, v16
	s_delay_alu instid0(VALU_DEP_4)
	v_and_b32_e32 v19, 0xffff, v1
	v_lshlrev_b32_e32 v1, 4, v17
	v_and_b32_e32 v20, 0xffff, v2
	v_lshlrev_b32_e32 v2, 4, v18
	global_load_b128 v[64:67], v0, s[2:3] offset:816
	v_add_lshl_u32 v18, v255, v18, 4
	global_load_b128 v[68:71], v1, s[2:3] offset:816
	v_lshlrev_b32_e32 v0, 4, v19
	v_lshlrev_b32_e32 v1, 4, v20
	s_clause 0x2
	global_load_b128 v[72:75], v2, s[2:3] offset:816
	global_load_b128 v[60:63], v0, s[2:3] offset:816
	;; [unrolled: 1-line block ×3, first 2 shown]
	ds_load_b128 v[0:3], v208 offset:7616
	ds_load_b128 v[4:7], v208 offset:8704
	ds_load_b128 v[8:11], v208 offset:9792
	ds_load_b128 v[12:15], v208 offset:10880
	ds_load_b128 v[76:79], v208 offset:11968
	ds_load_b128 v[80:83], v208 offset:13056
	ds_load_b128 v[84:87], v208 offset:14144
	ds_load_b128 v[88:91], v208 offset:6528
	v_add_lshl_u32 v17, v255, v19, 4
	s_mov_b32 s2, 0x37e14327
	s_mov_b32 s3, 0x3fe948f6
	s_wait_loadcnt_dscnt 0x507
	v_mul_f64_e32 v[92:93], v[2:3], v[54:55]
	v_mul_f64_e32 v[94:95], v[0:1], v[54:55]
	s_wait_dscnt 0x6
	v_mul_f64_e32 v[96:97], v[6:7], v[54:55]
	v_mul_f64_e32 v[98:99], v[4:5], v[54:55]
	s_wait_loadcnt_dscnt 0x405
	v_mul_f64_e32 v[100:101], v[10:11], v[66:67]
	v_mul_f64_e32 v[102:103], v[8:9], v[66:67]
	s_wait_loadcnt_dscnt 0x304
	;; [unrolled: 3-line block ×5, first 2 shown]
	v_mul_f64_e32 v[116:117], v[86:87], v[58:59]
	v_mul_f64_e32 v[118:119], v[84:85], v[58:59]
	v_fma_f64 v[92:93], v[0:1], v[52:53], -v[92:93]
	v_fma_f64 v[94:95], v[2:3], v[52:53], v[94:95]
	v_fma_f64 v[96:97], v[4:5], v[52:53], -v[96:97]
	v_fma_f64 v[98:99], v[6:7], v[52:53], v[98:99]
	v_fma_f64 v[100:101], v[8:9], v[64:65], -v[100:101]
	v_fma_f64 v[102:103], v[10:11], v[64:65], v[102:103]
	v_fma_f64 v[104:105], v[12:13], v[68:69], -v[104:105]
	v_fma_f64 v[106:107], v[14:15], v[68:69], v[106:107]
	v_fma_f64 v[108:109], v[76:77], v[72:73], -v[108:109]
	v_fma_f64 v[110:111], v[78:79], v[72:73], v[110:111]
	v_fma_f64 v[112:113], v[80:81], v[60:61], -v[112:113]
	v_fma_f64 v[114:115], v[82:83], v[60:61], v[114:115]
	v_fma_f64 v[116:117], v[84:85], v[56:57], -v[116:117]
	v_fma_f64 v[118:119], v[86:87], v[56:57], v[118:119]
	ds_load_b128 v[0:3], v208
	ds_load_b128 v[4:7], v208 offset:1088
	ds_load_b128 v[8:11], v208 offset:2176
	;; [unrolled: 1-line block ×5, first 2 shown]
	global_wb scope:SCOPE_SE
	s_wait_dscnt 0x0
	s_barrier_signal -1
	s_barrier_wait -1
	global_inv scope:SCOPE_SE
	v_add_f64_e64 v[84:85], v[0:1], -v[92:93]
	v_add_f64_e64 v[86:87], v[2:3], -v[94:95]
	;; [unrolled: 1-line block ×14, first 2 shown]
	v_add_lshl_u32 v116, v255, v16, 4
	v_add_lshl_u32 v16, v255, v20, 4
	v_fma_f64 v[0:1], v[0:1], 2.0, -v[84:85]
	v_fma_f64 v[2:3], v[2:3], 2.0, -v[86:87]
	;; [unrolled: 1-line block ×8, first 2 shown]
	ds_store_b128 v208, v[0:3]
	ds_store_b128 v208, v[84:87] offset:1088
	ds_store_b128 v208, v[4:7] offset:2176
	;; [unrolled: 1-line block ×4, first 2 shown]
	v_fma_f64 v[76:77], v[76:77], 2.0, -v[104:105]
	v_fma_f64 v[78:79], v[78:79], 2.0, -v[106:107]
	;; [unrolled: 1-line block ×6, first 2 shown]
	scratch_store_b32 off, v116, off offset:136 ; 4-byte Folded Spill
	ds_store_b128 v116, v[96:99] offset:5440
	ds_store_b128 v23, v[12:15] offset:6528
	scratch_store_b32 off, v23, off offset:128 ; 4-byte Folded Spill
	ds_store_b128 v23, v[100:103] offset:7616
	ds_store_b128 v18, v[76:79] offset:8704
	;; [unrolled: 3-line block ×4, first 2 shown]
	scratch_store_b32 off, v16, off offset:104 ; 4-byte Folded Spill
	ds_store_b128 v16, v[112:115] offset:14144
	global_wb scope:SCOPE_SE
	s_wait_storecnt_dscnt 0x0
	s_barrier_signal -1
	s_barrier_wait -1
	global_inv scope:SCOPE_SE
	s_clause 0xb
	global_load_b128 v[80:83], v[132:133], off offset:1904
	global_load_b128 v[76:79], v[132:133], off offset:1920
	global_load_b128 v[84:87], v[132:133], off offset:1984
	global_load_b128 v[88:91], v[132:133], off offset:1968
	global_load_b128 v[96:99], v[132:133], off offset:8432
	global_load_b128 v[92:95], v[132:133], off offset:8448
	global_load_b128 v[108:111], v[132:133], off offset:8512
	global_load_b128 v[120:123], v[132:133], off offset:8496
	global_load_b128 v[116:119], v[132:133], off offset:1936
	global_load_b128 v[112:115], v[132:133], off offset:1952
	global_load_b128 v[104:107], v[132:133], off offset:8464
	global_load_b128 v[100:103], v[132:133], off offset:8480
	ds_load_b128 v[0:3], v208 offset:2176
	ds_load_b128 v[4:7], v208 offset:4352
	;; [unrolled: 1-line block ×12, first 2 shown]
	s_wait_loadcnt_dscnt 0xb0b
	v_mul_f64_e32 v[164:165], v[2:3], v[82:83]
	v_mul_f64_e32 v[166:167], v[0:1], v[82:83]
	s_wait_loadcnt_dscnt 0xa0a
	v_mul_f64_e32 v[168:169], v[6:7], v[78:79]
	v_mul_f64_e32 v[170:171], v[4:5], v[78:79]
	;; [unrolled: 3-line block ×4, first 2 shown]
	s_wait_loadcnt_dscnt 0x707
	v_mul_f64_e32 v[182:183], v[132:133], v[98:99]
	s_wait_loadcnt_dscnt 0x606
	v_mul_f64_e32 v[186:187], v[136:137], v[94:95]
	;; [unrolled: 2-line block ×4, first 2 shown]
	v_mul_f64_e32 v[180:181], v[134:135], v[98:99]
	v_mul_f64_e32 v[184:185], v[138:139], v[94:95]
	;; [unrolled: 1-line block ×4, first 2 shown]
	s_wait_loadcnt_dscnt 0x302
	v_mul_f64_e32 v[196:197], v[154:155], v[118:119]
	v_mul_f64_e32 v[198:199], v[152:153], v[118:119]
	s_wait_loadcnt 0x2
	v_mul_f64_e32 v[200:201], v[150:151], v[114:115]
	v_mul_f64_e32 v[202:203], v[148:149], v[114:115]
	v_fma_f64 v[0:1], v[0:1], v[80:81], -v[164:165]
	v_fma_f64 v[2:3], v[2:3], v[80:81], v[166:167]
	v_fma_f64 v[4:5], v[4:5], v[76:77], -v[168:169]
	v_fma_f64 v[6:7], v[6:7], v[76:77], v[170:171]
	;; [unrolled: 2-line block ×4, first 2 shown]
	s_wait_loadcnt_dscnt 0x101
	v_mul_f64_e32 v[164:165], v[158:159], v[106:107]
	v_mul_f64_e32 v[166:167], v[156:157], v[106:107]
	s_wait_loadcnt_dscnt 0x0
	v_mul_f64_e32 v[168:169], v[162:163], v[102:103]
	v_mul_f64_e32 v[170:171], v[160:161], v[102:103]
	v_fma_f64 v[134:135], v[134:135], v[96:97], v[182:183]
	v_fma_f64 v[138:139], v[138:139], v[92:93], v[186:187]
	;; [unrolled: 1-line block ×4, first 2 shown]
	v_fma_f64 v[132:133], v[132:133], v[96:97], -v[180:181]
	v_fma_f64 v[136:137], v[136:137], v[92:93], -v[184:185]
	v_fma_f64 v[140:141], v[140:141], v[108:109], -v[188:189]
	v_fma_f64 v[144:145], v[144:145], v[120:121], -v[192:193]
	v_fma_f64 v[152:153], v[152:153], v[116:117], -v[196:197]
	v_fma_f64 v[154:155], v[154:155], v[116:117], v[198:199]
	v_fma_f64 v[148:149], v[148:149], v[112:113], -v[200:201]
	v_fma_f64 v[150:151], v[150:151], v[112:113], v[202:203]
	v_add_f64_e32 v[172:173], v[0:1], v[8:9]
	v_add_f64_e32 v[174:175], v[2:3], v[10:11]
	;; [unrolled: 1-line block ×4, first 2 shown]
	v_fma_f64 v[156:157], v[156:157], v[104:105], -v[164:165]
	v_fma_f64 v[158:159], v[158:159], v[104:105], v[166:167]
	v_fma_f64 v[160:161], v[160:161], v[100:101], -v[168:169]
	v_fma_f64 v[162:163], v[162:163], v[100:101], v[170:171]
	v_add_f64_e64 v[12:13], v[4:5], -v[12:13]
	v_add_f64_e64 v[14:15], v[6:7], -v[14:15]
	v_add_f64_e32 v[166:167], v[134:135], v[142:143]
	v_add_f64_e32 v[170:171], v[138:139], v[146:147]
	v_add_f64_e64 v[8:9], v[0:1], -v[8:9]
	v_add_f64_e64 v[10:11], v[2:3], -v[10:11]
	v_add_f64_e32 v[164:165], v[132:133], v[140:141]
	v_add_f64_e32 v[168:169], v[136:137], v[144:145]
	;; [unrolled: 4-line block ×3, first 2 shown]
	v_add_f64_e64 v[150:151], v[150:151], -v[154:155]
	v_add_f64_e64 v[140:141], v[132:133], -v[140:141]
	;; [unrolled: 1-line block ×4, first 2 shown]
	v_add_f64_e32 v[0:1], v[176:177], v[172:173]
	v_add_f64_e32 v[2:3], v[178:179], v[174:175]
	;; [unrolled: 1-line block ×4, first 2 shown]
	v_add_f64_e64 v[144:145], v[160:161], -v[156:157]
	v_add_f64_e64 v[146:147], v[162:163], -v[158:159]
	v_add_f64_e32 v[134:135], v[170:171], v[166:167]
	v_add_f64_e64 v[184:185], v[12:13], -v[8:9]
	v_add_f64_e64 v[186:187], v[14:15], -v[10:11]
	v_add_f64_e32 v[132:133], v[168:169], v[164:165]
	v_add_f64_e64 v[152:153], v[172:173], -v[180:181]
	v_add_f64_e64 v[154:155], v[174:175], -v[182:183]
	v_add_f64_e64 v[156:157], v[180:181], -v[176:177]
	v_add_f64_e64 v[158:159], v[182:183], -v[178:179]
	v_add_f64_e64 v[162:163], v[150:151], -v[14:15]
	v_add_f64_e64 v[196:197], v[136:137], -v[140:141]
	v_add_f64_e64 v[160:161], v[148:149], -v[12:13]
	v_add_f64_e64 v[198:199], v[138:139], -v[142:143]
	v_add_f64_e64 v[172:173], v[176:177], -v[172:173]
	v_add_f64_e64 v[174:175], v[178:179], -v[174:175]
	v_add_f64_e32 v[12:13], v[148:149], v[12:13]
	v_add_f64_e32 v[14:15], v[150:151], v[14:15]
	v_add_f64_e64 v[150:151], v[10:11], -v[150:151]
	v_add_f64_e64 v[148:149], v[8:9], -v[148:149]
	v_add_f64_e32 v[180:181], v[180:181], v[0:1]
	v_add_f64_e32 v[182:183], v[182:183], v[2:3]
	v_add_f64_e64 v[188:189], v[164:165], -v[4:5]
	v_add_f64_e64 v[190:191], v[166:167], -v[6:7]
	v_add_f64_e64 v[192:193], v[144:145], -v[136:137]
	v_add_f64_e64 v[194:195], v[146:147], -v[138:139]
	v_add_f64_e64 v[204:205], v[4:5], -v[168:169]
	v_add_f64_e32 v[202:203], v[6:7], v[134:135]
	v_add_f64_e64 v[206:207], v[6:7], -v[170:171]
	v_add_f64_e32 v[176:177], v[144:145], v[136:137]
	v_add_f64_e32 v[178:179], v[146:147], v[138:139]
	;; [unrolled: 1-line block ×3, first 2 shown]
	ds_load_b128 v[0:3], v208
	ds_load_b128 v[4:7], v208 offset:1088
	v_mul_f64_e32 v[215:216], s[16:17], v[186:187]
	s_wait_alu 0xfffe
	v_mul_f64_e32 v[152:153], s[2:3], v[152:153]
	v_mul_f64_e32 v[154:155], s[2:3], v[154:155]
	;; [unrolled: 1-line block ×7, first 2 shown]
	v_add_f64_e32 v[8:9], v[12:13], v[8:9]
	v_add_f64_e32 v[10:11], v[14:15], v[10:11]
	s_wait_dscnt 0x1
	v_add_f64_e32 v[132:133], v[0:1], v[180:181]
	v_add_f64_e32 v[134:135], v[2:3], v[182:183]
	v_add_f64_e64 v[0:1], v[140:141], -v[144:145]
	v_add_f64_e64 v[2:3], v[142:143], -v[146:147]
	v_mul_f64_e32 v[144:145], s[2:3], v[188:189]
	v_mul_f64_e32 v[146:147], s[2:3], v[190:191]
	;; [unrolled: 1-line block ×5, first 2 shown]
	s_wait_dscnt 0x0
	v_add_f64_e32 v[138:139], v[6:7], v[202:203]
	v_add_f64_e64 v[6:7], v[170:171], -v[166:167]
	s_mov_b32 s2, 0x5476071b
	v_mul_f64_e32 v[166:167], s[10:11], v[206:207]
	v_add_f64_e32 v[136:137], v[4:5], v[200:201]
	v_add_f64_e64 v[4:5], v[168:169], -v[164:165]
	v_mul_f64_e32 v[164:165], s[10:11], v[204:205]
	s_mov_b32 s3, 0x3fe77f67
	s_mov_b32 s15, 0xbfe77f67
	s_wait_alu 0xfffe
	s_mov_b32 s14, s2
	v_mul_f64_e32 v[194:195], s[16:17], v[198:199]
	v_add_f64_e32 v[12:13], v[176:177], v[140:141]
	v_add_f64_e32 v[14:15], v[178:179], v[142:143]
	v_fma_f64 v[142:143], v[158:159], s[10:11], v[154:155]
	v_fma_f64 v[158:159], v[174:175], s[2:3], -v[211:212]
	v_fma_f64 v[170:171], v[150:151], s[20:21], v[162:163]
	v_fma_f64 v[162:163], v[186:187], s[16:17], -v[162:163]
	s_wait_alu 0xfffe
	v_fma_f64 v[154:155], v[174:175], s[14:15], -v[154:155]
	v_fma_f64 v[140:141], v[156:157], s[10:11], v[152:153]
	v_fma_f64 v[156:157], v[172:173], s[2:3], -v[209:210]
	v_fma_f64 v[152:153], v[172:173], s[14:15], -v[152:153]
	v_fma_f64 v[168:169], v[148:149], s[20:21], v[160:161]
	v_fma_f64 v[160:161], v[184:185], s[16:17], -v[160:161]
	v_fma_f64 v[148:149], v[148:149], s[22:23], -v[213:214]
	;; [unrolled: 1-line block ×3, first 2 shown]
	v_fma_f64 v[176:177], v[180:181], s[18:19], v[132:133]
	v_fma_f64 v[178:179], v[182:183], s[18:19], v[134:135]
	;; [unrolled: 1-line block ×6, first 2 shown]
	v_fma_f64 v[186:187], v[198:199], s[16:17], -v[190:191]
	v_fma_f64 v[0:1], v[0:1], s[22:23], -v[192:193]
	v_fma_f64 v[190:191], v[202:203], s[18:19], v[138:139]
	v_fma_f64 v[146:147], v[6:7], s[14:15], -v[146:147]
	v_fma_f64 v[6:7], v[6:7], s[2:3], -v[166:167]
	v_fma_f64 v[184:185], v[196:197], s[16:17], -v[188:189]
	v_fma_f64 v[144:145], v[4:5], s[14:15], -v[144:145]
	v_fma_f64 v[4:5], v[4:5], s[2:3], -v[164:165]
	s_mov_b32 s2, 0x37c3f68c
	s_mov_b32 s3, 0x3fdc38aa
	v_fma_f64 v[188:189], v[200:201], s[18:19], v[136:137]
	v_fma_f64 v[2:3], v[2:3], s[22:23], -v[194:195]
	s_wait_alu 0xfffe
	v_fma_f64 v[166:167], v[10:11], s[2:3], v[170:171]
	v_fma_f64 v[162:163], v[10:11], s[2:3], v[162:163]
	;; [unrolled: 1-line block ×6, first 2 shown]
	v_add_f64_e32 v[168:169], v[140:141], v[176:177]
	v_add_f64_e32 v[170:171], v[142:143], v[178:179]
	;; [unrolled: 1-line block ×6, first 2 shown]
	v_fma_f64 v[196:197], v[12:13], s[2:3], v[180:181]
	v_fma_f64 v[198:199], v[14:15], s[2:3], v[182:183]
	;; [unrolled: 1-line block ×4, first 2 shown]
	v_add_f64_e32 v[186:187], v[146:147], v[190:191]
	v_add_f64_e32 v[6:7], v[6:7], v[190:191]
	v_fma_f64 v[182:183], v[12:13], s[2:3], v[184:185]
	v_add_f64_e32 v[12:13], v[172:173], v[188:189]
	v_fma_f64 v[2:3], v[14:15], s[2:3], v[2:3]
	v_add_f64_e32 v[14:15], v[174:175], v[190:191]
	v_add_f64_e32 v[184:185], v[144:145], v[188:189]
	;; [unrolled: 1-line block ×4, first 2 shown]
	v_add_f64_e64 v[142:143], v[170:171], -v[164:165]
	v_add_f64_e32 v[144:145], v[10:11], v[192:193]
	v_add_f64_e64 v[146:147], v[194:195], -v[8:9]
	v_add_f64_e64 v[148:149], v[152:153], -v[162:163]
	v_add_f64_e32 v[150:151], v[160:161], v[154:155]
	v_add_f64_e32 v[152:153], v[162:163], v[152:153]
	v_add_f64_e64 v[154:155], v[154:155], -v[160:161]
	v_add_f64_e64 v[156:157], v[192:193], -v[10:11]
	v_add_f64_e32 v[158:159], v[8:9], v[194:195]
	v_add_f64_e64 v[160:161], v[168:169], -v[166:167]
	v_add_f64_e64 v[174:175], v[186:187], -v[0:1]
	v_add_f64_e32 v[186:187], v[0:1], v[186:187]
	scratch_load_b32 v0, off, off offset:4  ; 4-byte Folded Reload
	v_add_f64_e32 v[162:163], v[164:165], v[170:171]
	v_add_f64_e32 v[178:179], v[182:183], v[6:7]
	v_add_f64_e64 v[182:183], v[6:7], -v[182:183]
	v_add_f64_e32 v[164:165], v[198:199], v[12:13]
	v_add_f64_e64 v[168:169], v[12:13], -v[198:199]
	v_add_f64_e64 v[166:167], v[14:15], -v[196:197]
	v_add_f64_e32 v[172:173], v[2:3], v[184:185]
	v_add_f64_e64 v[176:177], v[4:5], -v[180:181]
	v_add_f64_e32 v[180:181], v[180:181], v[4:5]
	;; [unrolled: 2-line block ×3, first 2 shown]
	s_wait_loadcnt 0x0
	v_lshl_add_u32 v1, v22, 4, v0
	v_add_nc_u32_e32 v255, v0, v21
	scratch_store_b32 off, v1, off offset:8 ; 4-byte Folded Spill
	ds_store_b128 v1, v[132:135]
	ds_store_b128 v255, v[140:143] offset:2176
	ds_store_b128 v255, v[136:139] offset:1088
	;; [unrolled: 1-line block ×13, first 2 shown]
	global_wb scope:SCOPE_SE
	s_wait_storecnt_dscnt 0x0
	s_barrier_signal -1
	s_barrier_wait -1
	global_inv scope:SCOPE_SE
	s_and_saveexec_b32 s1, vcc_lo
	s_cbranch_execz .LBB0_13
; %bb.12:
	scratch_load_b32 v0, off, off           ; 4-byte Folded Reload
	s_add_nc_u64 s[2:3], s[8:9], 0x3b80
	s_wait_loadcnt 0x0
	v_lshlrev_b32_e32 v16, 4, v0
	s_clause 0x7
	global_load_b128 v[188:191], v16, s[8:9] offset:15232
	global_load_b128 v[192:195], v16, s[2:3] offset:896
	;; [unrolled: 1-line block ×8, first 2 shown]
	scratch_load_b32 v17, off, off offset:8 ; 4-byte Folded Reload
	s_clause 0x1
	global_load_b128 v[209:212], v16, s[2:3] offset:7168
	global_load_b128 v[213:216], v16, s[2:3] offset:8064
	s_wait_loadcnt 0x2
	ds_load_b128 v[12:15], v17
	s_wait_dscnt 0x0
	v_mul_f64_e32 v[217:218], v[14:15], v[190:191]
	v_mul_f64_e32 v[190:191], v[12:13], v[190:191]
	s_delay_alu instid0(VALU_DEP_2) | instskip(NEXT) | instid1(VALU_DEP_2)
	v_fma_f64 v[12:13], v[12:13], v[188:189], -v[217:218]
	v_fma_f64 v[14:15], v[14:15], v[188:189], v[190:191]
	s_clause 0x1
	global_load_b128 v[188:191], v16, s[2:3] offset:8960
	global_load_b128 v[217:220], v16, s[2:3] offset:9856
	ds_store_b128 v17, v[12:15]
	ds_load_b128 v[12:15], v255 offset:896
	ds_load_b128 v[221:224], v255 offset:1792
	s_wait_dscnt 0x1
	v_mul_f64_e32 v[225:226], v[14:15], v[194:195]
	v_mul_f64_e32 v[194:195], v[12:13], v[194:195]
	s_wait_dscnt 0x0
	v_mul_f64_e32 v[229:230], v[223:224], v[198:199]
	v_mul_f64_e32 v[198:199], v[221:222], v[198:199]
	s_delay_alu instid0(VALU_DEP_4) | instskip(NEXT) | instid1(VALU_DEP_4)
	v_fma_f64 v[12:13], v[12:13], v[192:193], -v[225:226]
	v_fma_f64 v[14:15], v[14:15], v[192:193], v[194:195]
	ds_load_b128 v[192:195], v255 offset:2688
	ds_load_b128 v[225:228], v255 offset:3584
	v_fma_f64 v[221:222], v[221:222], v[196:197], -v[229:230]
	v_fma_f64 v[223:224], v[223:224], v[196:197], v[198:199]
	s_wait_dscnt 0x1
	v_mul_f64_e32 v[231:232], v[194:195], v[202:203]
	v_mul_f64_e32 v[196:197], v[192:193], v[202:203]
	s_wait_dscnt 0x0
	v_mul_f64_e32 v[229:230], v[227:228], v[206:207]
	v_mul_f64_e32 v[206:207], v[225:226], v[206:207]
	s_delay_alu instid0(VALU_DEP_4) | instskip(NEXT) | instid1(VALU_DEP_4)
	v_fma_f64 v[192:193], v[192:193], v[200:201], -v[231:232]
	v_fma_f64 v[194:195], v[194:195], v[200:201], v[196:197]
	ds_load_b128 v[196:199], v255 offset:4480
	ds_load_b128 v[200:203], v255 offset:5376
	v_fma_f64 v[225:226], v[225:226], v[204:205], -v[229:230]
	v_fma_f64 v[227:228], v[227:228], v[204:205], v[206:207]
	;; [unrolled: 13-line block ×3, first 2 shown]
	s_wait_dscnt 0x1
	v_mul_f64_e32 v[231:232], v[2:3], v[10:11]
	v_mul_f64_e32 v[4:5], v[0:1], v[10:11]
	s_wait_loadcnt_dscnt 0x300
	v_mul_f64_e32 v[229:230], v[206:207], v[211:212]
	v_mul_f64_e32 v[211:212], v[204:205], v[211:212]
	s_delay_alu instid0(VALU_DEP_4) | instskip(NEXT) | instid1(VALU_DEP_4)
	v_fma_f64 v[0:1], v[0:1], v[8:9], -v[231:232]
	v_fma_f64 v[2:3], v[2:3], v[8:9], v[4:5]
	ds_load_b128 v[4:7], v255 offset:8064
	ds_load_b128 v[8:11], v255 offset:8960
	v_fma_f64 v[204:205], v[204:205], v[209:210], -v[229:230]
	v_fma_f64 v[206:207], v[206:207], v[209:210], v[211:212]
	s_wait_loadcnt_dscnt 0x201
	v_mul_f64_e32 v[231:232], v[6:7], v[215:216]
	v_mul_f64_e32 v[209:210], v[4:5], v[215:216]
	s_wait_loadcnt_dscnt 0x100
	v_mul_f64_e32 v[229:230], v[10:11], v[190:191]
	v_mul_f64_e32 v[190:191], v[8:9], v[190:191]
	s_delay_alu instid0(VALU_DEP_4) | instskip(NEXT) | instid1(VALU_DEP_4)
	v_fma_f64 v[4:5], v[4:5], v[213:214], -v[231:232]
	v_fma_f64 v[6:7], v[6:7], v[213:214], v[209:210]
	ds_load_b128 v[213:216], v255 offset:9856
	global_load_b128 v[209:212], v16, s[2:3] offset:10752
	v_fma_f64 v[8:9], v[8:9], v[188:189], -v[229:230]
	v_fma_f64 v[10:11], v[10:11], v[188:189], v[190:191]
	ds_load_b128 v[188:191], v255 offset:10752
	s_wait_loadcnt_dscnt 0x101
	v_mul_f64_e32 v[229:230], v[215:216], v[219:220]
	v_mul_f64_e32 v[219:220], v[213:214], v[219:220]
	s_delay_alu instid0(VALU_DEP_2) | instskip(NEXT) | instid1(VALU_DEP_2)
	v_fma_f64 v[213:214], v[213:214], v[217:218], -v[229:230]
	v_fma_f64 v[215:216], v[215:216], v[217:218], v[219:220]
	global_load_b128 v[217:220], v16, s[2:3] offset:11648
	s_wait_loadcnt_dscnt 0x100
	v_mul_f64_e32 v[229:230], v[190:191], v[211:212]
	v_mul_f64_e32 v[211:212], v[188:189], v[211:212]
	s_delay_alu instid0(VALU_DEP_2) | instskip(NEXT) | instid1(VALU_DEP_2)
	v_fma_f64 v[188:189], v[188:189], v[209:210], -v[229:230]
	v_fma_f64 v[190:191], v[190:191], v[209:210], v[211:212]
	ds_load_b128 v[209:212], v255 offset:11648
	ds_load_b128 v[229:232], v255 offset:12544
	s_wait_loadcnt_dscnt 0x1
	v_mul_f64_e32 v[233:234], v[211:212], v[219:220]
	v_mul_f64_e32 v[219:220], v[209:210], v[219:220]
	s_delay_alu instid0(VALU_DEP_2) | instskip(NEXT) | instid1(VALU_DEP_2)
	v_fma_f64 v[209:210], v[209:210], v[217:218], -v[233:234]
	v_fma_f64 v[211:212], v[211:212], v[217:218], v[219:220]
	s_clause 0x1
	global_load_b128 v[217:220], v16, s[2:3] offset:12544
	global_load_b128 v[233:236], v16, s[2:3] offset:13440
	s_wait_loadcnt_dscnt 0x100
	v_mul_f64_e32 v[237:238], v[231:232], v[219:220]
	v_mul_f64_e32 v[219:220], v[229:230], v[219:220]
	s_delay_alu instid0(VALU_DEP_2) | instskip(NEXT) | instid1(VALU_DEP_2)
	v_fma_f64 v[229:230], v[229:230], v[217:218], -v[237:238]
	v_fma_f64 v[231:232], v[231:232], v[217:218], v[219:220]
	ds_load_b128 v[217:220], v255 offset:13440
	ds_load_b128 v[237:240], v255 offset:14336
	s_wait_loadcnt_dscnt 0x1
	v_mul_f64_e32 v[241:242], v[219:220], v[235:236]
	v_mul_f64_e32 v[235:236], v[217:218], v[235:236]
	s_delay_alu instid0(VALU_DEP_2) | instskip(NEXT) | instid1(VALU_DEP_2)
	v_fma_f64 v[217:218], v[217:218], v[233:234], -v[241:242]
	v_fma_f64 v[219:220], v[219:220], v[233:234], v[235:236]
	global_load_b128 v[233:236], v16, s[2:3] offset:14336
	s_wait_loadcnt_dscnt 0x0
	v_mul_f64_e32 v[241:242], v[239:240], v[235:236]
	v_mul_f64_e32 v[243:244], v[237:238], v[235:236]
	s_delay_alu instid0(VALU_DEP_2) | instskip(NEXT) | instid1(VALU_DEP_2)
	v_fma_f64 v[235:236], v[237:238], v[233:234], -v[241:242]
	v_fma_f64 v[237:238], v[239:240], v[233:234], v[243:244]
	ds_store_b128 v255, v[12:15] offset:896
	ds_store_b128 v255, v[221:224] offset:1792
	;; [unrolled: 1-line block ×16, first 2 shown]
.LBB0_13:
	s_wait_alu 0xfffe
	s_or_b32 exec_lo, exec_lo, s1
	global_wb scope:SCOPE_SE
	s_wait_dscnt 0x0
	s_barrier_signal -1
	s_barrier_wait -1
	global_inv scope:SCOPE_SE
	s_and_saveexec_b32 s1, vcc_lo
	s_cbranch_execz .LBB0_15
; %bb.14:
	scratch_load_b32 v0, off, off offset:8  ; 4-byte Folded Reload
	s_wait_loadcnt 0x0
	ds_load_b128 v[132:135], v0
	ds_load_b128 v[140:143], v0 offset:896
	ds_load_b128 v[144:147], v0 offset:1792
	;; [unrolled: 1-line block ×16, first 2 shown]
.LBB0_15:
	s_wait_alu 0xfffe
	s_or_b32 exec_lo, exec_lo, s1
	s_wait_dscnt 0x0
	v_add_f64_e64 v[4:5], v[142:143], -v[247:248]
	s_mov_b32 s10, 0x2a9d6da3
	s_mov_b32 s11, 0xbfe58eea
	v_add_f64_e32 v[251:252], v[245:246], v[140:141]
	v_add_f64_e64 v[206:207], v[146:147], -v[126:127]
	s_mov_b32 s2, 0x75d4884
	s_mov_b32 s16, 0xeb564b22
	;; [unrolled: 1-line block ×4, first 2 shown]
	v_add_f64_e32 v[204:205], v[124:125], v[144:145]
	s_mov_b32 s14, 0x3259b75e
	s_mov_b32 s15, 0x3fb79ee6
	v_add_f64_e32 v[14:15], v[247:248], v[142:143]
	v_add_f64_e32 v[209:210], v[126:127], v[146:147]
	v_add_f64_e64 v[215:216], v[144:145], -v[124:125]
	v_add_f64_e64 v[213:214], v[150:151], -v[130:131]
	s_mov_b32 s20, 0x6c9a05f6
	s_mov_b32 s21, 0xbfe9895b
	v_add_f64_e32 v[211:212], v[148:149], v[128:129]
	s_mov_b32 s18, 0x6ed5f1bb
	s_mov_b32 s19, 0xbfe348c8
	v_add_f64_e32 v[217:218], v[150:151], v[130:131]
	v_add_f64_e64 v[223:224], v[148:149], -v[128:129]
	v_add_f64_e64 v[221:222], v[154:155], -v[170:171]
	s_mov_b32 s24, 0xacd6c6b4
	s_mov_b32 s25, 0xbfc7851a
	v_add_f64_e32 v[219:220], v[152:153], v[168:169]
	s_mov_b32 s22, 0x7faef3
	s_mov_b32 s23, 0xbfef7484
	v_add_f64_e32 v[225:226], v[154:155], v[170:171]
	v_add_f64_e64 v[231:232], v[152:153], -v[168:169]
	v_add_f64_e64 v[229:230], v[158:159], -v[186:187]
	v_add_f64_e32 v[227:228], v[184:185], v[156:157]
	s_mov_b32 s26, 0x910ea3b9
	s_mov_b32 s27, 0xbfeb34fa
	v_add_f64_e32 v[233:234], v[186:187], v[158:159]
	v_add_f64_e64 v[243:244], v[156:157], -v[184:185]
	v_add_f64_e64 v[241:242], v[162:163], -v[182:183]
	s_wait_alu 0xfffe
	v_mul_f64_e32 v[24:25], s[10:11], v[4:5]
	s_mov_b32 s30, 0x923c349f
	s_mov_b32 s31, 0xbfeec746
	;; [unrolled: 1-line block ×3, first 2 shown]
	v_mul_f64_e32 v[20:21], s[16:17], v[206:207]
	v_mul_f64_e32 v[200:201], s[38:39], v[206:207]
	;; [unrolled: 1-line block ×4, first 2 shown]
	s_wait_alu 0xfffe
	s_mov_b32 s42, s30
	v_add_f64_e32 v[235:236], v[180:181], v[160:161]
	s_mov_b32 s28, 0xc61f0d01
	s_mov_b32 s29, 0xbfd183b1
	v_mul_f64_e32 v[6:7], s[2:3], v[14:15]
	v_mul_f64_e32 v[26:27], s[14:15], v[209:210]
	;; [unrolled: 1-line block ×5, first 2 shown]
	v_add_f64_e32 v[239:240], v[182:183], v[162:163]
	v_add_f64_e64 v[253:254], v[160:161], -v[180:181]
	v_add_f64_e64 v[249:250], v[138:139], -v[178:179]
	s_mov_b32 s36, 0x7c9e640b
	s_mov_b32 s37, 0xbfeca52d
	;; [unrolled: 1-line block ×3, first 2 shown]
	s_wait_alu 0xfffe
	s_mov_b32 s40, s36
	v_dual_mov_b32 v16, v245 :: v_dual_mov_b32 v17, v246
	v_dual_mov_b32 v18, v247 :: v_dual_mov_b32 v19, v248
	s_mov_b32 s34, 0x2b2883cd
	s_mov_b32 s35, 0x3fdc86fa
	v_add_f64_e32 v[247:248], v[138:139], v[178:179]
	v_add_f64_e64 v[10:11], v[136:137], -v[176:177]
	s_mov_b32 s50, 0x5d8e7cdc
	s_mov_b32 s51, 0x3fd71e95
	v_add_f64_e32 v[237:238], v[164:165], v[172:173]
	s_mov_b32 s44, 0x370991
	s_mov_b32 s45, 0x3fedd6d0
	v_add_f64_e64 v[12:13], v[164:165], -v[172:173]
	v_fma_f64 v[0:1], v[251:252], s[2:3], -v[24:25]
	s_mov_b32 s57, 0x3fc7851a
	s_mov_b32 s56, s24
	s_mov_b32 s53, 0x3fe58eea
	v_fma_f64 v[2:3], v[204:205], s[14:15], -v[20:21]
	s_mov_b32 s52, s10
	s_mov_b32 s49, 0xbfd71e95
	s_wait_alu 0xfffe
	s_mov_b32 s48, s50
	s_mov_b32 s47, 0xbfe0d888
	;; [unrolled: 1-line block ×5, first 2 shown]
	s_clause 0x1
	scratch_store_b64 off, v[6:7], off offset:240
	scratch_store_b64 off, v[200:201], off offset:408
	v_fma_f64 v[8:9], v[215:216], s[16:17], v[26:27]
	scratch_store_b64 off, v[192:193], off offset:288 ; 8-byte Folded Spill
	v_fma_f64 v[192:193], v[204:205], s[18:19], -v[192:193]
	scratch_store_b64 off, v[194:195], off offset:320 ; 8-byte Folded Spill
	v_fma_f64 v[194:195], v[215:216], s[20:21], v[194:195]
	scratch_store_b64 off, v[196:197], off offset:336 ; 8-byte Folded Spill
	v_fma_f64 v[196:197], v[204:205], s[22:23], -v[196:197]
	scratch_store_b64 off, v[198:199], off offset:400 ; 8-byte Folded Spill
	v_fma_f64 v[198:199], v[215:216], s[24:25], v[198:199]
	v_fma_f64 v[200:201], v[204:205], s[26:27], -v[200:201]
	s_mov_b32 s55, 0x3fefdd0d
	s_mov_b32 s54, s16
	v_add_f64_e32 v[0:1], v[132:133], v[0:1]
	s_delay_alu instid0(VALU_DEP_1) | instskip(SKIP_2) | instid1(VALU_DEP_2)
	v_add_f64_e32 v[2:3], v[2:3], v[0:1]
	v_add_f64_e64 v[0:1], v[140:141], -v[245:246]
	v_add_f64_e32 v[245:246], v[136:137], v[176:177]
	v_fma_f64 v[6:7], v[0:1], s[10:11], v[6:7]
	s_delay_alu instid0(VALU_DEP_1) | instskip(NEXT) | instid1(VALU_DEP_1)
	v_add_f64_e32 v[6:7], v[134:135], v[6:7]
	v_add_f64_e32 v[6:7], v[8:9], v[6:7]
	v_fma_f64 v[8:9], v[211:212], s[18:19], -v[22:23]
	s_delay_alu instid0(VALU_DEP_1) | instskip(SKIP_3) | instid1(VALU_DEP_1)
	v_add_f64_e32 v[2:3], v[8:9], v[2:3]
	v_mul_f64_e32 v[8:9], s[18:19], v[217:218]
	scratch_store_b64 off, v[8:9], off offset:216 ; 8-byte Folded Spill
	v_fma_f64 v[8:9], v[223:224], s[20:21], v[8:9]
	v_add_f64_e32 v[6:7], v[8:9], v[6:7]
	v_mul_f64_e32 v[8:9], s[24:25], v[221:222]
	scratch_store_b64 off, v[8:9], off offset:24 ; 8-byte Folded Spill
	v_fma_f64 v[8:9], v[219:220], s[22:23], -v[8:9]
	s_delay_alu instid0(VALU_DEP_1) | instskip(SKIP_3) | instid1(VALU_DEP_1)
	v_add_f64_e32 v[2:3], v[8:9], v[2:3]
	v_mul_f64_e32 v[8:9], s[22:23], v[225:226]
	scratch_store_b64 off, v[8:9], off offset:232 ; 8-byte Folded Spill
	v_fma_f64 v[8:9], v[231:232], s[24:25], v[8:9]
	v_add_f64_e32 v[6:7], v[8:9], v[6:7]
	v_mul_f64_e32 v[8:9], s[38:39], v[229:230]
	scratch_store_b64 off, v[8:9], off offset:224 ; 8-byte Folded Spill
	;; [unrolled: 9-line block ×4, first 2 shown]
	v_fma_f64 v[8:9], v[245:246], s[34:35], -v[8:9]
	s_delay_alu instid0(VALU_DEP_1) | instskip(SKIP_3) | instid1(VALU_DEP_1)
	v_add_f64_e32 v[2:3], v[8:9], v[2:3]
	v_mul_f64_e32 v[8:9], s[34:35], v[247:248]
	scratch_store_b64 off, v[8:9], off offset:296 ; 8-byte Folded Spill
	v_fma_f64 v[8:9], v[10:11], s[40:41], v[8:9]
	v_add_f64_e32 v[190:191], v[8:9], v[6:7]
	v_add_f64_e64 v[8:9], v[166:167], -v[174:175]
	s_delay_alu instid0(VALU_DEP_1) | instskip(SKIP_2) | instid1(VALU_DEP_1)
	v_mul_f64_e32 v[6:7], s[50:51], v[8:9]
	scratch_store_b64 off, v[6:7], off offset:280 ; 8-byte Folded Spill
	v_fma_f64 v[6:7], v[237:238], s[44:45], -v[6:7]
	v_add_f64_e32 v[188:189], v[6:7], v[2:3]
	v_add_f64_e32 v[6:7], v[166:167], v[174:175]
	s_delay_alu instid0(VALU_DEP_1) | instskip(SKIP_2) | instid1(VALU_DEP_1)
	v_mul_f64_e32 v[2:3], s[44:45], v[6:7]
	scratch_store_b64 off, v[2:3], off offset:328 ; 8-byte Folded Spill
	v_fma_f64 v[2:3], v[12:13], s[50:51], v[2:3]
	v_add_f64_e32 v[190:191], v[2:3], v[190:191]
	v_mul_f64_e32 v[2:3], s[36:37], v[4:5]
	scratch_store_b64 off, v[2:3], off offset:640 ; 8-byte Folded Spill
	v_fma_f64 v[2:3], v[251:252], s[34:35], -v[2:3]
	s_delay_alu instid0(VALU_DEP_1) | instskip(NEXT) | instid1(VALU_DEP_1)
	v_add_f64_e32 v[2:3], v[132:133], v[2:3]
	v_add_f64_e32 v[2:3], v[192:193], v[2:3]
	v_mul_f64_e32 v[192:193], s[34:35], v[14:15]
	scratch_store_b64 off, v[192:193], off offset:648 ; 8-byte Folded Spill
	v_fma_f64 v[192:193], v[0:1], s[36:37], v[192:193]
	s_delay_alu instid0(VALU_DEP_1) | instskip(NEXT) | instid1(VALU_DEP_1)
	v_add_f64_e32 v[192:193], v[134:135], v[192:193]
	v_add_f64_e32 v[192:193], v[194:195], v[192:193]
	v_mul_f64_e32 v[194:195], s[56:57], v[213:214]
	scratch_store_b64 off, v[194:195], off offset:304 ; 8-byte Folded Spill
	v_fma_f64 v[194:195], v[211:212], s[22:23], -v[194:195]
	s_delay_alu instid0(VALU_DEP_1) | instskip(SKIP_3) | instid1(VALU_DEP_1)
	v_add_f64_e32 v[2:3], v[194:195], v[2:3]
	v_mul_f64_e32 v[194:195], s[22:23], v[217:218]
	scratch_store_b64 off, v[194:195], off offset:344 ; 8-byte Folded Spill
	v_fma_f64 v[194:195], v[223:224], s[56:57], v[194:195]
	v_add_f64_e32 v[192:193], v[194:195], v[192:193]
	v_mul_f64_e32 v[194:195], s[42:43], v[221:222]
	scratch_store_b64 off, v[194:195], off offset:312 ; 8-byte Folded Spill
	v_fma_f64 v[194:195], v[219:220], s[28:29], -v[194:195]
	s_delay_alu instid0(VALU_DEP_1) | instskip(SKIP_3) | instid1(VALU_DEP_1)
	v_add_f64_e32 v[2:3], v[194:195], v[2:3]
	v_mul_f64_e32 v[194:195], s[28:29], v[225:226]
	scratch_store_b64 off, v[194:195], off offset:384 ; 8-byte Folded Spill
	v_fma_f64 v[194:195], v[231:232], s[42:43], v[194:195]
	;; [unrolled: 9-line block ×3, first 2 shown]
	v_add_f64_e32 v[192:193], v[194:195], v[192:193]
	s_wait_alu 0xfffe
	v_mul_f64_e32 v[194:195], s[48:49], v[241:242]
	scratch_store_b64 off, v[194:195], off offset:432 ; 8-byte Folded Spill
	v_fma_f64 v[194:195], v[235:236], s[44:45], -v[194:195]
	s_delay_alu instid0(VALU_DEP_1) | instskip(SKIP_3) | instid1(VALU_DEP_1)
	v_add_f64_e32 v[2:3], v[194:195], v[2:3]
	v_mul_f64_e32 v[194:195], s[44:45], v[239:240]
	scratch_store_b64 off, v[194:195], off offset:536 ; 8-byte Folded Spill
	v_fma_f64 v[194:195], v[253:254], s[48:49], v[194:195]
	v_add_f64_e32 v[192:193], v[194:195], v[192:193]
	v_mul_f64_e32 v[194:195], s[16:17], v[249:250]
	scratch_store_b64 off, v[194:195], off offset:352 ; 8-byte Folded Spill
	v_fma_f64 v[194:195], v[245:246], s[14:15], -v[194:195]
	s_delay_alu instid0(VALU_DEP_1) | instskip(SKIP_3) | instid1(VALU_DEP_1)
	v_add_f64_e32 v[2:3], v[194:195], v[2:3]
	v_mul_f64_e32 v[194:195], s[14:15], v[247:248]
	scratch_store_b64 off, v[194:195], off offset:424 ; 8-byte Folded Spill
	v_fma_f64 v[194:195], v[10:11], s[16:17], v[194:195]
	v_add_f64_e32 v[194:195], v[194:195], v[192:193]
	;; [unrolled: 9-line block ×3, first 2 shown]
	v_mul_f64_e32 v[2:3], s[16:17], v[4:5]
	scratch_store_b64 off, v[2:3], off offset:656 ; 8-byte Folded Spill
	v_fma_f64 v[2:3], v[251:252], s[14:15], -v[2:3]
	s_delay_alu instid0(VALU_DEP_1) | instskip(NEXT) | instid1(VALU_DEP_1)
	v_add_f64_e32 v[2:3], v[132:133], v[2:3]
	v_add_f64_e32 v[2:3], v[196:197], v[2:3]
	v_mul_f64_e32 v[196:197], s[14:15], v[14:15]
	scratch_store_b64 off, v[196:197], off offset:664 ; 8-byte Folded Spill
	v_fma_f64 v[196:197], v[0:1], s[16:17], v[196:197]
	s_delay_alu instid0(VALU_DEP_1) | instskip(NEXT) | instid1(VALU_DEP_1)
	v_add_f64_e32 v[196:197], v[134:135], v[196:197]
	v_add_f64_e32 v[196:197], v[198:199], v[196:197]
	v_mul_f64_e32 v[198:199], s[42:43], v[213:214]
	scratch_store_b64 off, v[198:199], off offset:376 ; 8-byte Folded Spill
	v_fma_f64 v[198:199], v[211:212], s[28:29], -v[198:199]
	s_delay_alu instid0(VALU_DEP_1) | instskip(SKIP_3) | instid1(VALU_DEP_1)
	v_add_f64_e32 v[2:3], v[198:199], v[2:3]
	v_mul_f64_e32 v[198:199], s[28:29], v[217:218]
	scratch_store_b64 off, v[198:199], off offset:440 ; 8-byte Folded Spill
	v_fma_f64 v[198:199], v[223:224], s[42:43], v[198:199]
	v_add_f64_e32 v[196:197], v[198:199], v[196:197]
	v_mul_f64_e32 v[198:199], s[50:51], v[221:222]
	scratch_store_b64 off, v[198:199], off offset:392 ; 8-byte Folded Spill
	v_fma_f64 v[198:199], v[219:220], s[44:45], -v[198:199]
	s_delay_alu instid0(VALU_DEP_1) | instskip(SKIP_3) | instid1(VALU_DEP_1)
	v_add_f64_e32 v[2:3], v[198:199], v[2:3]
	v_mul_f64_e32 v[198:199], s[44:45], v[225:226]
	scratch_store_b64 off, v[198:199], off offset:512 ; 8-byte Folded Spill
	v_fma_f64 v[198:199], v[231:232], s[50:51], v[198:199]
	;; [unrolled: 9-line block ×6, first 2 shown]
	v_add_f64_e32 v[198:199], v[2:3], v[198:199]
	v_mul_f64_e32 v[2:3], s[30:31], v[4:5]
	scratch_store_b64 off, v[2:3], off offset:672 ; 8-byte Folded Spill
	v_fma_f64 v[2:3], v[251:252], s[28:29], -v[2:3]
	s_delay_alu instid0(VALU_DEP_1) | instskip(NEXT) | instid1(VALU_DEP_1)
	v_add_f64_e32 v[2:3], v[132:133], v[2:3]
	v_add_f64_e32 v[200:201], v[200:201], v[2:3]
	v_mul_f64_e32 v[2:3], s[28:29], v[14:15]
	scratch_store_b64 off, v[2:3], off offset:680 ; 8-byte Folded Spill
	v_fma_f64 v[202:203], v[0:1], s[30:31], v[2:3]
	v_mul_f64_e32 v[2:3], s[26:27], v[209:210]
	s_delay_alu instid0(VALU_DEP_2) | instskip(SKIP_2) | instid1(VALU_DEP_1)
	v_add_f64_e32 v[202:203], v[134:135], v[202:203]
	scratch_store_b64 off, v[2:3], off offset:496 ; 8-byte Folded Spill
	v_fma_f64 v[2:3], v[215:216], s[38:39], v[2:3]
	v_add_f64_e32 v[2:3], v[2:3], v[202:203]
	v_mul_f64_e32 v[202:203], s[52:53], v[213:214]
	scratch_store_b64 off, v[202:203], off offset:472 ; 8-byte Folded Spill
	v_fma_f64 v[202:203], v[211:212], s[2:3], -v[202:203]
	s_delay_alu instid0(VALU_DEP_1) | instskip(SKIP_3) | instid1(VALU_DEP_1)
	v_add_f64_e32 v[200:201], v[202:203], v[200:201]
	v_mul_f64_e32 v[202:203], s[2:3], v[217:218]
	scratch_store_b64 off, v[202:203], off offset:552 ; 8-byte Folded Spill
	v_fma_f64 v[202:203], v[223:224], s[52:53], v[202:203]
	v_add_f64_e32 v[2:3], v[202:203], v[2:3]
	v_mul_f64_e32 v[202:203], s[36:37], v[221:222]
	scratch_store_b64 off, v[202:203], off offset:488 ; 8-byte Folded Spill
	v_fma_f64 v[202:203], v[219:220], s[34:35], -v[202:203]
	s_delay_alu instid0(VALU_DEP_1) | instskip(SKIP_3) | instid1(VALU_DEP_1)
	v_add_f64_e32 v[200:201], v[202:203], v[200:201]
	v_mul_f64_e32 v[202:203], s[34:35], v[225:226]
	scratch_store_b64 off, v[202:203], off offset:576 ; 8-byte Folded Spill
	v_fma_f64 v[202:203], v[231:232], s[36:37], v[202:203]
	v_add_f64_e32 v[2:3], v[202:203], v[2:3]
	v_mul_f64_e32 v[202:203], s[24:25], v[229:230]
	scratch_store_b64 off, v[202:203], off offset:504 ; 8-byte Folded Spill
	v_fma_f64 v[202:203], v[227:228], s[22:23], -v[202:203]
	s_delay_alu instid0(VALU_DEP_1) | instskip(SKIP_3) | instid1(VALU_DEP_1)
	v_add_f64_e32 v[200:201], v[202:203], v[200:201]
	v_mul_f64_e32 v[202:203], s[22:23], v[233:234]
	scratch_store_b64 off, v[202:203], off offset:600 ; 8-byte Folded Spill
	v_fma_f64 v[202:203], v[243:244], s[24:25], v[202:203]
	v_add_f64_e32 v[2:3], v[202:203], v[2:3]
	v_mul_f64_e32 v[202:203], s[54:55], v[241:242]
	scratch_store_b64 off, v[202:203], off offset:520 ; 8-byte Folded Spill
	v_fma_f64 v[202:203], v[235:236], s[14:15], -v[202:203]
	s_delay_alu instid0(VALU_DEP_1) | instskip(SKIP_3) | instid1(VALU_DEP_1)
	v_add_f64_e32 v[200:201], v[202:203], v[200:201]
	v_mul_f64_e32 v[202:203], s[14:15], v[239:240]
	scratch_store_b64 off, v[202:203], off offset:624 ; 8-byte Folded Spill
	v_fma_f64 v[202:203], v[253:254], s[54:55], v[202:203]
	v_add_f64_e32 v[2:3], v[202:203], v[2:3]
	v_mul_f64_e32 v[202:203], s[48:49], v[249:250]
	scratch_store_b64 off, v[202:203], off offset:608 ; 8-byte Folded Spill
	v_fma_f64 v[202:203], v[245:246], s[44:45], -v[202:203]
	s_delay_alu instid0(VALU_DEP_1) | instskip(SKIP_3) | instid1(VALU_DEP_1)
	v_add_f64_e32 v[200:201], v[202:203], v[200:201]
	v_mul_f64_e32 v[202:203], s[44:45], v[247:248]
	scratch_store_b64 off, v[202:203], off offset:632 ; 8-byte Folded Spill
	v_fma_f64 v[202:203], v[10:11], s[48:49], v[202:203]
	v_add_f64_e32 v[2:3], v[202:203], v[2:3]
	v_mul_f64_e32 v[202:203], s[20:21], v[8:9]
	scratch_store_b64 off, v[202:203], off offset:560 ; 8-byte Folded Spill
	v_fma_f64 v[202:203], v[237:238], s[18:19], -v[202:203]
	s_delay_alu instid0(VALU_DEP_1)
	v_add_f64_e32 v[200:201], v[202:203], v[200:201]
	v_mul_f64_e32 v[202:203], s[18:19], v[6:7]
	scratch_store_b64 off, v[202:203], off offset:584 ; 8-byte Folded Spill
	v_fma_f64 v[202:203], v[12:13], s[20:21], v[202:203]
	global_wb scope:SCOPE_SE
	s_wait_storecnt 0x0
	s_barrier_signal -1
	s_barrier_wait -1
	global_inv scope:SCOPE_SE
	v_add_f64_e32 v[202:203], v[202:203], v[2:3]
	s_and_saveexec_b32 s1, vcc_lo
	s_cbranch_execz .LBB0_17
; %bb.16:
	v_add_f64_e32 v[140:141], v[132:133], v[140:141]
	v_add_f64_e32 v[2:3], v[134:135], v[142:143]
	v_mul_f64_e32 v[142:143], s[10:11], v[0:1]
	s_delay_alu instid0(VALU_DEP_3) | instskip(NEXT) | instid1(VALU_DEP_3)
	v_add_f64_e32 v[140:141], v[144:145], v[140:141]
	v_add_f64_e32 v[2:3], v[146:147], v[2:3]
	v_mul_f64_e32 v[146:147], s[24:25], v[0:1]
	v_mul_f64_e32 v[144:145], s[2:3], v[251:252]
	s_delay_alu instid0(VALU_DEP_4) | instskip(NEXT) | instid1(VALU_DEP_4)
	v_add_f64_e32 v[140:141], v[148:149], v[140:141]
	v_add_f64_e32 v[2:3], v[150:151], v[2:3]
	v_mul_f64_e32 v[148:149], s[46:47], v[0:1]
	v_mul_f64_e32 v[150:151], s[20:21], v[0:1]
	v_add_f64_e32 v[144:145], v[144:145], v[24:25]
	v_dual_mov_b32 v25, v23 :: v_dual_mov_b32 v24, v22
	v_add_f64_e32 v[140:141], v[152:153], v[140:141]
	v_add_f64_e32 v[2:3], v[154:155], v[2:3]
	v_fma_f64 v[152:153], v[14:15], s[22:23], v[146:147]
	v_fma_f64 v[146:147], v[14:15], s[22:23], -v[146:147]
	v_fma_f64 v[154:155], v[14:15], s[26:27], v[148:149]
	v_fma_f64 v[148:149], v[14:15], s[26:27], -v[148:149]
	v_add_f64_e32 v[140:141], v[156:157], v[140:141]
	v_add_f64_e32 v[2:3], v[158:159], v[2:3]
	v_fma_f64 v[156:157], v[14:15], s[18:19], v[150:151]
	v_fma_f64 v[150:151], v[14:15], s[18:19], -v[150:151]
	v_add_f64_e32 v[152:153], v[134:135], v[152:153]
	v_add_f64_e32 v[146:147], v[134:135], v[146:147]
	;; [unrolled: 1-line block ×6, first 2 shown]
	v_mul_f64_e32 v[160:161], s[46:47], v[4:5]
	v_mul_f64_e32 v[162:163], s[20:21], v[4:5]
	s_delay_alu instid0(VALU_DEP_4) | instskip(NEXT) | instid1(VALU_DEP_4)
	v_add_f64_e32 v[136:137], v[136:137], v[140:141]
	v_add_f64_e32 v[2:3], v[138:139], v[2:3]
	v_mul_f64_e32 v[138:139], s[36:37], v[0:1]
	v_mul_f64_e32 v[140:141], s[34:35], v[251:252]
	s_delay_alu instid0(VALU_DEP_4) | instskip(NEXT) | instid1(VALU_DEP_4)
	v_add_f64_e32 v[136:137], v[164:165], v[136:137]
	v_add_f64_e32 v[2:3], v[166:167], v[2:3]
	v_fma_f64 v[166:167], v[251:252], s[26:27], -v[160:161]
	v_fma_f64 v[160:161], v[251:252], s[26:27], v[160:161]
	s_delay_alu instid0(VALU_DEP_4) | instskip(NEXT) | instid1(VALU_DEP_4)
	v_add_f64_e32 v[136:137], v[172:173], v[136:137]
	v_add_f64_e32 v[2:3], v[174:175], v[2:3]
	s_delay_alu instid0(VALU_DEP_4) | instskip(NEXT) | instid1(VALU_DEP_4)
	v_add_f64_e32 v[166:167], v[132:133], v[166:167]
	v_add_f64_e32 v[160:161], v[132:133], v[160:161]
	v_add_f64_e32 v[172:173], v[134:135], v[156:157]
	v_add_f64_e32 v[156:157], v[134:135], v[150:151]
	v_add_f64_e32 v[136:137], v[176:177], v[136:137]
	v_add_f64_e32 v[2:3], v[178:179], v[2:3]
	s_delay_alu instid0(VALU_DEP_2) | instskip(NEXT) | instid1(VALU_DEP_2)
	v_add_f64_e32 v[136:137], v[180:181], v[136:137]
	v_add_f64_e32 v[2:3], v[182:183], v[2:3]
	s_delay_alu instid0(VALU_DEP_2) | instskip(NEXT) | instid1(VALU_DEP_2)
	v_add_f64_e32 v[136:137], v[184:185], v[136:137]
	v_add_f64_e32 v[2:3], v[186:187], v[2:3]
	;; [unrolled: 3-line block ×3, first 2 shown]
	v_fma_f64 v[168:169], v[251:252], s[18:19], -v[162:163]
	v_fma_f64 v[162:163], v[251:252], s[18:19], v[162:163]
	s_delay_alu instid0(VALU_DEP_4) | instskip(NEXT) | instid1(VALU_DEP_4)
	v_add_f64_e32 v[128:129], v[128:129], v[136:137]
	v_add_f64_e32 v[2:3], v[130:131], v[2:3]
	v_mul_f64_e32 v[136:137], s[14:15], v[251:252]
	v_add_f64_e32 v[168:169], v[132:133], v[168:169]
	v_add_f64_e32 v[162:163], v[132:133], v[162:163]
	;; [unrolled: 1-line block ×4, first 2 shown]
	v_mul_f64_e32 v[126:127], s[16:17], v[0:1]
	s_delay_alu instid0(VALU_DEP_3)
	v_add_f64_e32 v[128:129], v[16:17], v[124:125]
	scratch_load_b64 v[16:17], off, off offset:680 th:TH_LOAD_LU ; 8-byte Folded Reload
	v_add_f64_e32 v[130:131], v[18:19], v[2:3]
	v_mul_f64_e32 v[2:3], s[30:31], v[0:1]
	v_mul_f64_e32 v[124:125], s[28:29], v[251:252]
	;; [unrolled: 1-line block ×3, first 2 shown]
	s_delay_alu instid0(VALU_DEP_1) | instskip(SKIP_3) | instid1(VALU_DEP_4)
	v_fma_f64 v[158:159], v[14:15], s[44:45], v[0:1]
	v_fma_f64 v[0:1], v[14:15], s[44:45], -v[0:1]
	v_mul_f64_e32 v[14:15], s[24:25], v[4:5]
	v_mul_f64_e32 v[4:5], s[48:49], v[4:5]
	v_add_f64_e32 v[184:185], v[134:135], v[158:159]
	s_delay_alu instid0(VALU_DEP_4) | instskip(NEXT) | instid1(VALU_DEP_4)
	v_add_f64_e32 v[186:187], v[134:135], v[0:1]
	v_fma_f64 v[164:165], v[251:252], s[22:23], -v[14:15]
	s_delay_alu instid0(VALU_DEP_4)
	v_fma_f64 v[170:171], v[251:252], s[44:45], -v[4:5]
	v_fma_f64 v[14:15], v[251:252], s[22:23], v[14:15]
	v_fma_f64 v[4:5], v[251:252], s[44:45], v[4:5]
	v_mul_f64_e32 v[0:1], s[50:51], v[215:216]
	v_mul_f64_e32 v[158:159], s[20:21], v[229:230]
	v_mul_f64_e32 v[251:252], s[40:41], v[241:242]
	v_add_f64_e32 v[164:165], v[132:133], v[164:165]
	v_add_f64_e32 v[14:15], v[132:133], v[14:15]
	s_wait_loadcnt 0x0
	v_add_f64_e64 v[2:3], v[16:17], -v[2:3]
	scratch_load_b64 v[16:17], off, off offset:672 th:TH_LOAD_LU ; 8-byte Folded Reload
	v_add_f64_e32 v[174:175], v[134:135], v[2:3]
	v_add_f64_e32 v[2:3], v[132:133], v[170:171]
	;; [unrolled: 1-line block ×3, first 2 shown]
	v_dual_mov_b32 v4, v20 :: v_dual_mov_b32 v5, v21
	v_mul_f64_e32 v[20:21], s[54:55], v[12:13]
	s_delay_alu instid0(VALU_DEP_1)
	v_fma_f64 v[22:23], v[6:7], s[14:15], v[20:21]
	s_wait_loadcnt 0x0
	v_add_f64_e32 v[124:125], v[124:125], v[16:17]
	scratch_load_b64 v[16:17], off, off offset:664 th:TH_LOAD_LU ; 8-byte Folded Reload
	v_add_f64_e32 v[176:177], v[132:133], v[124:125]
	s_wait_loadcnt 0x0
	v_add_f64_e64 v[126:127], v[16:17], -v[126:127]
	scratch_load_b64 v[16:17], off, off offset:656 th:TH_LOAD_LU ; 8-byte Folded Reload
	v_add_f64_e32 v[150:151], v[134:135], v[126:127]
	s_wait_loadcnt 0x0
	v_add_f64_e32 v[136:137], v[136:137], v[16:17]
	scratch_load_b64 v[16:17], off, off offset:648 th:TH_LOAD_LU ; 8-byte Folded Reload
	v_add_f64_e32 v[178:179], v[132:133], v[136:137]
	v_mul_f64_e32 v[136:137], s[46:47], v[213:214]
	s_wait_loadcnt 0x0
	v_add_f64_e64 v[138:139], v[16:17], -v[138:139]
	scratch_load_b64 v[16:17], off, off offset:640 th:TH_LOAD_LU ; 8-byte Folded Reload
	v_add_f64_e32 v[180:181], v[134:135], v[138:139]
	v_mul_f64_e32 v[138:139], s[52:53], v[231:232]
	s_wait_loadcnt 0x0
	v_add_f64_e32 v[140:141], v[140:141], v[16:17]
	scratch_load_b64 v[16:17], off, off offset:240 th:TH_LOAD_LU ; 8-byte Folded Reload
	scratch_store_b64 off, v[2:3], off offset:240 ; 8-byte Folded Spill
	v_fma_f64 v[2:3], v[209:210], s[44:45], v[0:1]
	v_fma_f64 v[0:1], v[209:210], s[44:45], -v[0:1]
	v_add_f64_e32 v[182:183], v[132:133], v[140:141]
	s_delay_alu instid0(VALU_DEP_3) | instskip(SKIP_1) | instid1(VALU_DEP_4)
	v_add_f64_e32 v[2:3], v[2:3], v[152:153]
	v_mul_f64_e32 v[152:153], s[20:21], v[243:244]
	v_add_f64_e32 v[0:1], v[0:1], v[146:147]
	v_mul_f64_e32 v[146:147], s[48:49], v[243:244]
	s_wait_loadcnt 0x0
	v_add_f64_e64 v[142:143], v[16:17], -v[142:143]
	v_mul_f64_e32 v[16:17], s[30:31], v[10:11]
	s_delay_alu instid0(VALU_DEP_2)
	v_add_f64_e32 v[140:141], v[134:135], v[142:143]
	v_add_f64_e32 v[142:143], v[132:133], v[144:145]
	v_mul_f64_e32 v[132:133], s[50:51], v[206:207]
	v_mul_f64_e32 v[134:135], s[46:47], v[223:224]
	v_mul_f64_e32 v[144:145], s[52:53], v[221:222]
	v_fma_f64 v[18:19], v[247:248], s[28:29], v[16:17]
	v_fma_f64 v[16:17], v[247:248], s[28:29], -v[16:17]
	v_fma_f64 v[124:125], v[204:205], s[44:45], -v[132:133]
	v_fma_f64 v[126:127], v[217:218], s[26:27], v[134:135]
	s_delay_alu instid0(VALU_DEP_2) | instskip(NEXT) | instid1(VALU_DEP_2)
	v_add_f64_e32 v[124:125], v[124:125], v[164:165]
	v_add_f64_e32 v[2:3], v[126:127], v[2:3]
	v_fma_f64 v[126:127], v[211:212], s[26:27], -v[136:137]
	v_mul_f64_e32 v[164:165], s[40:41], v[253:254]
	s_delay_alu instid0(VALU_DEP_2) | instskip(SKIP_1) | instid1(VALU_DEP_1)
	v_add_f64_e32 v[124:125], v[126:127], v[124:125]
	v_fma_f64 v[126:127], v[225:226], s[2:3], v[138:139]
	v_add_f64_e32 v[2:3], v[126:127], v[2:3]
	v_fma_f64 v[126:127], v[219:220], s[2:3], -v[144:145]
	s_delay_alu instid0(VALU_DEP_1) | instskip(SKIP_1) | instid1(VALU_DEP_1)
	v_add_f64_e32 v[124:125], v[126:127], v[124:125]
	v_fma_f64 v[126:127], v[233:234], s[18:19], v[152:153]
	v_add_f64_e32 v[2:3], v[126:127], v[2:3]
	v_fma_f64 v[126:127], v[227:228], s[18:19], -v[158:159]
	s_delay_alu instid0(VALU_DEP_1) | instskip(SKIP_1) | instid1(VALU_DEP_1)
	v_add_f64_e32 v[124:125], v[126:127], v[124:125]
	v_fma_f64 v[126:127], v[239:240], s[34:35], v[164:165]
	v_add_f64_e32 v[2:3], v[126:127], v[2:3]
	v_fma_f64 v[126:127], v[235:236], s[34:35], -v[251:252]
	s_delay_alu instid0(VALU_DEP_2) | instskip(SKIP_1) | instid1(VALU_DEP_3)
	v_add_f64_e32 v[2:3], v[18:19], v[2:3]
	v_mul_f64_e32 v[18:19], s[30:31], v[249:250]
	v_add_f64_e32 v[124:125], v[126:127], v[124:125]
	s_delay_alu instid0(VALU_DEP_2) | instskip(NEXT) | instid1(VALU_DEP_1)
	v_fma_f64 v[126:127], v[245:246], s[28:29], -v[18:19]
	v_add_f64_e32 v[124:125], v[126:127], v[124:125]
	v_add_f64_e32 v[126:127], v[22:23], v[2:3]
	v_mul_f64_e32 v[2:3], s[54:55], v[8:9]
	s_delay_alu instid0(VALU_DEP_1) | instskip(NEXT) | instid1(VALU_DEP_1)
	v_fma_f64 v[22:23], v[237:238], s[14:15], -v[2:3]
	v_add_f64_e32 v[124:125], v[22:23], v[124:125]
	v_fma_f64 v[22:23], v[204:205], s[44:45], v[132:133]
	s_delay_alu instid0(VALU_DEP_1) | instskip(SKIP_1) | instid1(VALU_DEP_1)
	v_add_f64_e32 v[14:15], v[22:23], v[14:15]
	v_fma_f64 v[22:23], v[217:218], s[26:27], -v[134:135]
	v_add_f64_e32 v[0:1], v[22:23], v[0:1]
	v_fma_f64 v[22:23], v[211:212], s[26:27], v[136:137]
	v_mul_f64_e32 v[136:137], s[16:17], v[213:214]
	s_delay_alu instid0(VALU_DEP_2) | instskip(SKIP_2) | instid1(VALU_DEP_2)
	v_add_f64_e32 v[14:15], v[22:23], v[14:15]
	v_fma_f64 v[22:23], v[225:226], s[2:3], -v[138:139]
	v_mul_f64_e32 v[138:139], s[58:59], v[231:232]
	v_add_f64_e32 v[0:1], v[22:23], v[0:1]
	v_fma_f64 v[22:23], v[219:220], s[2:3], v[144:145]
	v_mul_f64_e32 v[144:145], s[58:59], v[221:222]
	s_delay_alu instid0(VALU_DEP_2) | instskip(SKIP_2) | instid1(VALU_DEP_2)
	v_add_f64_e32 v[14:15], v[22:23], v[14:15]
	v_fma_f64 v[22:23], v[233:234], s[18:19], -v[152:153]
	v_mul_f64_e32 v[152:153], s[48:49], v[229:230]
	;; [unrolled: 7-line block ×3, first 2 shown]
	v_add_f64_e32 v[0:1], v[22:23], v[0:1]
	v_fma_f64 v[22:23], v[235:236], s[34:35], v[251:252]
	v_mul_f64_e32 v[251:252], s[30:31], v[12:13]
	s_delay_alu instid0(VALU_DEP_3) | instskip(NEXT) | instid1(VALU_DEP_3)
	v_add_f64_e32 v[0:1], v[16:17], v[0:1]
	v_add_f64_e32 v[14:15], v[22:23], v[14:15]
	v_fma_f64 v[16:17], v[245:246], s[28:29], v[18:19]
	v_fma_f64 v[18:19], v[237:238], s[14:15], v[2:3]
	v_mul_f64_e32 v[22:23], s[16:17], v[223:224]
	s_delay_alu instid0(VALU_DEP_3) | instskip(SKIP_1) | instid1(VALU_DEP_3)
	v_add_f64_e32 v[14:15], v[16:17], v[14:15]
	v_fma_f64 v[16:17], v[6:7], s[14:15], -v[20:21]
	v_fma_f64 v[132:133], v[217:218], s[14:15], v[22:23]
	s_delay_alu instid0(VALU_DEP_2) | instskip(NEXT) | instid1(VALU_DEP_4)
	v_add_f64_e32 v[2:3], v[16:17], v[0:1]
	v_add_f64_e32 v[0:1], v[18:19], v[14:15]
	v_mul_f64_e32 v[14:15], s[40:41], v[215:216]
	v_mul_f64_e32 v[18:19], s[40:41], v[206:207]
	s_delay_alu instid0(VALU_DEP_2) | instskip(NEXT) | instid1(VALU_DEP_2)
	v_fma_f64 v[16:17], v[209:210], s[34:35], v[14:15]
	v_fma_f64 v[20:21], v[204:205], s[34:35], -v[18:19]
	v_fma_f64 v[14:15], v[209:210], s[34:35], -v[14:15]
	v_fma_f64 v[18:19], v[204:205], s[34:35], v[18:19]
	s_delay_alu instid0(VALU_DEP_4) | instskip(NEXT) | instid1(VALU_DEP_4)
	v_add_f64_e32 v[16:17], v[16:17], v[154:155]
	v_add_f64_e32 v[20:21], v[20:21], v[166:167]
	v_mul_f64_e32 v[154:155], s[24:25], v[253:254]
	v_mul_f64_e32 v[166:167], s[52:53], v[249:250]
	v_add_f64_e32 v[14:15], v[14:15], v[148:149]
	v_add_f64_e32 v[18:19], v[18:19], v[160:161]
	v_mul_f64_e32 v[148:149], s[14:15], v[204:205]
	v_mul_f64_e32 v[160:161], s[2:3], v[211:212]
	v_add_f64_e32 v[16:17], v[132:133], v[16:17]
	v_fma_f64 v[132:133], v[211:212], s[14:15], -v[136:137]
	s_delay_alu instid0(VALU_DEP_4) | instskip(SKIP_3) | instid1(VALU_DEP_1)
	v_add_f64_e32 v[148:149], v[148:149], v[4:5]
	scratch_load_b64 v[4:5], off, off offset:24 th:TH_LOAD_LU ; 8-byte Folded Reload
	v_add_f64_e32 v[20:21], v[132:133], v[20:21]
	v_fma_f64 v[132:133], v[225:226], s[18:19], v[138:139]
	v_add_f64_e32 v[16:17], v[132:133], v[16:17]
	v_fma_f64 v[132:133], v[219:220], s[18:19], -v[144:145]
	s_delay_alu instid0(VALU_DEP_1) | instskip(SKIP_1) | instid1(VALU_DEP_1)
	v_add_f64_e32 v[20:21], v[132:133], v[20:21]
	v_fma_f64 v[132:133], v[233:234], s[44:45], v[146:147]
	v_add_f64_e32 v[16:17], v[132:133], v[16:17]
	v_fma_f64 v[132:133], v[227:228], s[44:45], -v[152:153]
	s_delay_alu instid0(VALU_DEP_1) | instskip(SKIP_1) | instid1(VALU_DEP_1)
	;; [unrolled: 5-line block ×4, first 2 shown]
	v_add_f64_e32 v[20:21], v[132:133], v[20:21]
	v_fma_f64 v[132:133], v[6:7], s[28:29], v[251:252]
	v_add_f64_e32 v[134:135], v[132:133], v[16:17]
	v_mul_f64_e32 v[16:17], s[30:31], v[8:9]
	s_delay_alu instid0(VALU_DEP_1) | instskip(SKIP_1) | instid1(VALU_DEP_2)
	v_fma_f64 v[132:133], v[237:238], s[28:29], -v[16:17]
	v_fma_f64 v[16:17], v[237:238], s[28:29], v[16:17]
	v_add_f64_e32 v[132:133], v[132:133], v[20:21]
	v_fma_f64 v[20:21], v[217:218], s[14:15], -v[22:23]
	scratch_load_b64 v[22:23], off, off offset:216 th:TH_LOAD_LU ; 8-byte Folded Reload
	v_add_f64_e32 v[14:15], v[20:21], v[14:15]
	v_fma_f64 v[20:21], v[211:212], s[14:15], v[136:137]
	s_delay_alu instid0(VALU_DEP_1) | instskip(SKIP_1) | instid1(VALU_DEP_1)
	v_add_f64_e32 v[18:19], v[20:21], v[18:19]
	v_fma_f64 v[20:21], v[225:226], s[18:19], -v[138:139]
	v_add_f64_e32 v[14:15], v[20:21], v[14:15]
	v_fma_f64 v[20:21], v[219:220], s[18:19], v[144:145]
	v_mul_f64_e32 v[144:145], s[28:29], v[235:236]
	s_delay_alu instid0(VALU_DEP_2) | instskip(SKIP_2) | instid1(VALU_DEP_2)
	v_add_f64_e32 v[18:19], v[20:21], v[18:19]
	v_fma_f64 v[20:21], v[233:234], s[44:45], -v[146:147]
	v_mul_f64_e32 v[146:147], s[26:27], v[227:228]
	v_add_f64_e32 v[14:15], v[20:21], v[14:15]
	v_fma_f64 v[20:21], v[227:228], s[44:45], v[152:153]
	v_mul_f64_e32 v[152:153], s[18:19], v[211:212]
	s_delay_alu instid0(VALU_DEP_2) | instskip(SKIP_1) | instid1(VALU_DEP_3)
	v_add_f64_e32 v[18:19], v[20:21], v[18:19]
	v_fma_f64 v[20:21], v[239:240], s[22:23], -v[154:155]
	v_add_f64_e32 v[152:153], v[152:153], v[24:25]
	v_mul_f64_e32 v[154:155], s[28:29], v[219:220]
	s_delay_alu instid0(VALU_DEP_3) | instskip(SKIP_2) | instid1(VALU_DEP_2)
	v_add_f64_e32 v[14:15], v[20:21], v[14:15]
	v_fma_f64 v[20:21], v[235:236], s[22:23], v[158:159]
	v_mul_f64_e32 v[158:159], s[28:29], v[211:212]
	v_add_f64_e32 v[18:19], v[20:21], v[18:19]
	v_fma_f64 v[20:21], v[247:248], s[2:3], -v[164:165]
	v_mul_f64_e32 v[164:165], s[34:35], v[219:220]
	s_delay_alu instid0(VALU_DEP_2) | instskip(SKIP_2) | instid1(VALU_DEP_2)
	v_add_f64_e32 v[14:15], v[20:21], v[14:15]
	v_fma_f64 v[20:21], v[245:246], s[2:3], v[166:167]
	v_mul_f64_e32 v[166:167], s[54:55], v[243:244]
	v_add_f64_e32 v[18:19], v[20:21], v[18:19]
	v_fma_f64 v[20:21], v[6:7], s[28:29], -v[251:252]
	v_mul_f64_e32 v[251:252], s[40:41], v[12:13]
	s_delay_alu instid0(VALU_DEP_3)
	v_add_f64_e32 v[136:137], v[16:17], v[18:19]
	s_clause 0x1
	scratch_load_b64 v[16:17], off, off offset:272 th:TH_LOAD_LU
	scratch_load_b64 v[18:19], off, off offset:248 th:TH_LOAD_LU
	v_add_f64_e32 v[138:139], v[20:21], v[14:15]
	scratch_load_b64 v[20:21], off, off offset:232 th:TH_LOAD_LU ; 8-byte Folded Reload
	v_mul_f64_e32 v[14:15], s[42:43], v[253:254]
	s_wait_loadcnt 0x2
	s_delay_alu instid0(VALU_DEP_1) | instskip(SKIP_2) | instid1(VALU_DEP_1)
	v_add_f64_e64 v[14:15], v[16:17], -v[14:15]
	v_mul_f64_e32 v[16:17], s[38:39], v[243:244]
	s_wait_loadcnt 0x1
	v_add_f64_e64 v[16:17], v[18:19], -v[16:17]
	v_mul_f64_e32 v[18:19], s[24:25], v[231:232]
	s_wait_loadcnt 0x0
	s_delay_alu instid0(VALU_DEP_1) | instskip(SKIP_1) | instid1(VALU_DEP_1)
	v_add_f64_e64 v[18:19], v[20:21], -v[18:19]
	v_mul_f64_e32 v[20:21], s[20:21], v[223:224]
	v_add_f64_e64 v[20:21], v[22:23], -v[20:21]
	v_mul_f64_e32 v[22:23], s[16:17], v[215:216]
	s_delay_alu instid0(VALU_DEP_1)
	v_add_f64_e64 v[22:23], v[26:27], -v[22:23]
	scratch_load_b64 v[26:27], off, off offset:256 th:TH_LOAD_LU ; 8-byte Folded Reload
	v_add_f64_e32 v[22:23], v[22:23], v[140:141]
	v_add_f64_e32 v[140:141], v[148:149], v[142:143]
	v_mul_f64_e32 v[142:143], s[22:23], v[219:220]
	v_mul_f64_e32 v[148:149], s[18:19], v[204:205]
	s_delay_alu instid0(VALU_DEP_4) | instskip(NEXT) | instid1(VALU_DEP_4)
	v_add_f64_e32 v[20:21], v[20:21], v[22:23]
	v_add_f64_e32 v[22:23], v[152:153], v[140:141]
	s_delay_alu instid0(VALU_DEP_4)
	v_add_f64_e32 v[142:143], v[142:143], v[4:5]
	scratch_load_b64 v[4:5], off, off offset:296 th:TH_LOAD_LU ; 8-byte Folded Reload
	v_mul_f64_e32 v[140:141], s[40:41], v[10:11]
	v_mul_f64_e32 v[152:153], s[22:23], v[211:212]
	v_add_f64_e32 v[18:19], v[18:19], v[20:21]
	v_add_f64_e32 v[20:21], v[142:143], v[22:23]
	v_mul_f64_e32 v[22:23], s[34:35], v[245:246]
	s_delay_alu instid0(VALU_DEP_3) | instskip(NEXT) | instid1(VALU_DEP_1)
	v_add_f64_e32 v[16:17], v[16:17], v[18:19]
	v_add_f64_e32 v[14:15], v[14:15], v[16:17]
	s_wait_loadcnt 0x1
	v_add_f64_e32 v[144:145], v[144:145], v[26:27]
	scratch_load_b64 v[26:27], off, off offset:224 th:TH_LOAD_LU ; 8-byte Folded Reload
	s_wait_loadcnt 0x1
	v_add_f64_e64 v[140:141], v[4:5], -v[140:141]
	scratch_load_b64 v[4:5], off, off offset:264 th:TH_LOAD_LU ; 8-byte Folded Reload
	v_add_f64_e32 v[14:15], v[140:141], v[14:15]
	s_wait_loadcnt 0x1
	v_add_f64_e32 v[146:147], v[146:147], v[26:27]
	s_delay_alu instid0(VALU_DEP_1) | instskip(SKIP_2) | instid1(VALU_DEP_3)
	v_add_f64_e32 v[18:19], v[146:147], v[20:21]
	v_mul_f64_e32 v[20:21], s[50:51], v[12:13]
	v_mul_f64_e32 v[146:147], s[2:3], v[227:228]
	v_add_f64_e32 v[16:17], v[144:145], v[18:19]
	v_mul_f64_e32 v[18:19], s[44:45], v[237:238]
	s_wait_loadcnt 0x0
	v_add_f64_e32 v[22:23], v[22:23], v[4:5]
	scratch_load_b64 v[4:5], off, off offset:328 th:TH_LOAD_LU ; 8-byte Folded Reload
	v_mul_f64_e32 v[144:145], s[44:45], v[235:236]
	v_add_f64_e32 v[16:17], v[22:23], v[16:17]
	v_mul_f64_e32 v[22:23], s[20:21], v[215:216]
	s_wait_loadcnt 0x0
	v_add_f64_e64 v[20:21], v[4:5], -v[20:21]
	scratch_load_b64 v[4:5], off, off offset:280 th:TH_LOAD_LU ; 8-byte Folded Reload
	v_add_f64_e32 v[142:143], v[20:21], v[14:15]
	v_mul_f64_e32 v[14:15], s[48:49], v[253:254]
	v_mul_f64_e32 v[20:21], s[56:57], v[223:224]
	s_wait_loadcnt 0x0
	v_add_f64_e32 v[18:19], v[18:19], v[4:5]
	scratch_load_b64 v[4:5], off, off offset:536 th:TH_LOAD_LU ; 8-byte Folded Reload
	v_add_f64_e32 v[140:141], v[18:19], v[16:17]
	v_mul_f64_e32 v[16:17], s[52:53], v[243:244]
	v_mul_f64_e32 v[18:19], s[42:43], v[231:232]
	s_wait_loadcnt 0x0
	v_add_f64_e64 v[14:15], v[4:5], -v[14:15]
	scratch_load_b64 v[4:5], off, off offset:456 th:TH_LOAD_LU ; 8-byte Folded Reload
	s_wait_loadcnt 0x0
	v_add_f64_e64 v[16:17], v[4:5], -v[16:17]
	scratch_load_b64 v[4:5], off, off offset:384 th:TH_LOAD_LU ; 8-byte Folded Reload
	;; [unrolled: 3-line block ×5, first 2 shown]
	v_add_f64_e32 v[22:23], v[22:23], v[180:181]
	v_mul_f64_e32 v[180:181], s[24:25], v[10:11]
	s_delay_alu instid0(VALU_DEP_2) | instskip(NEXT) | instid1(VALU_DEP_1)
	v_add_f64_e32 v[20:21], v[20:21], v[22:23]
	v_add_f64_e32 v[18:19], v[18:19], v[20:21]
	s_delay_alu instid0(VALU_DEP_1) | instskip(NEXT) | instid1(VALU_DEP_1)
	v_add_f64_e32 v[16:17], v[16:17], v[18:19]
	v_add_f64_e32 v[14:15], v[14:15], v[16:17]
	s_wait_loadcnt 0x0
	v_add_f64_e32 v[144:145], v[144:145], v[4:5]
	scratch_load_b64 v[4:5], off, off offset:368 th:TH_LOAD_LU ; 8-byte Folded Reload
	s_wait_loadcnt 0x0
	v_add_f64_e32 v[146:147], v[146:147], v[4:5]
	scratch_load_b64 v[4:5], off, off offset:288 th:TH_LOAD_LU ; 8-byte Folded Reload
	;; [unrolled: 3-line block ×3, first 2 shown]
	v_add_f64_e32 v[148:149], v[148:149], v[182:183]
	v_mul_f64_e32 v[182:183], s[24:25], v[249:250]
	s_wait_loadcnt 0x0
	v_add_f64_e32 v[152:153], v[152:153], v[4:5]
	scratch_load_b64 v[4:5], off, off offset:312 th:TH_LOAD_LU ; 8-byte Folded Reload
	v_add_f64_e32 v[22:23], v[152:153], v[148:149]
	v_mul_f64_e32 v[148:149], s[16:17], v[10:11]
	v_mul_f64_e32 v[152:153], s[26:27], v[235:236]
	s_wait_loadcnt 0x0
	v_add_f64_e32 v[154:155], v[154:155], v[4:5]
	scratch_load_b64 v[4:5], off, off offset:424 th:TH_LOAD_LU ; 8-byte Folded Reload
	v_add_f64_e32 v[20:21], v[154:155], v[22:23]
	v_mul_f64_e32 v[22:23], s[14:15], v[245:246]
	v_mul_f64_e32 v[154:155], s[22:23], v[204:205]
	s_delay_alu instid0(VALU_DEP_3) | instskip(SKIP_1) | instid1(VALU_DEP_2)
	v_add_f64_e32 v[18:19], v[146:147], v[20:21]
	v_mul_f64_e32 v[20:21], s[46:47], v[12:13]
	v_add_f64_e32 v[16:17], v[144:145], v[18:19]
	v_mul_f64_e32 v[18:19], s[26:27], v[237:238]
	s_wait_loadcnt 0x0
	v_add_f64_e64 v[148:149], v[4:5], -v[148:149]
	scratch_load_b64 v[4:5], off, off offset:352 th:TH_LOAD_LU ; 8-byte Folded Reload
	v_add_f64_e32 v[14:15], v[148:149], v[14:15]
	v_mul_f64_e32 v[148:149], s[24:25], v[215:216]
	s_wait_loadcnt 0x0
	v_add_f64_e32 v[22:23], v[22:23], v[4:5]
	scratch_load_b64 v[4:5], off, off offset:448 th:TH_LOAD_LU ; 8-byte Folded Reload
	v_add_f64_e32 v[16:17], v[22:23], v[16:17]
	v_mul_f64_e32 v[22:23], s[42:43], v[223:224]
	s_wait_loadcnt 0x0
	v_add_f64_e64 v[20:21], v[4:5], -v[20:21]
	scratch_load_b64 v[4:5], off, off offset:360 th:TH_LOAD_LU ; 8-byte Folded Reload
	v_add_f64_e32 v[146:147], v[20:21], v[14:15]
	v_mul_f64_e32 v[14:15], s[58:59], v[10:11]
	v_mul_f64_e32 v[20:21], s[50:51], v[231:232]
	s_wait_loadcnt 0x0
	v_add_f64_e32 v[18:19], v[18:19], v[4:5]
	scratch_load_b64 v[4:5], off, off offset:616 th:TH_LOAD_LU ; 8-byte Folded Reload
	v_add_f64_e32 v[144:145], v[18:19], v[16:17]
	v_mul_f64_e32 v[16:17], s[46:47], v[253:254]
	v_mul_f64_e32 v[18:19], s[36:37], v[243:244]
	s_wait_loadcnt 0x0
	v_add_f64_e64 v[14:15], v[4:5], -v[14:15]
	scratch_load_b64 v[4:5], off, off offset:592 th:TH_LOAD_LU ; 8-byte Folded Reload
	s_wait_loadcnt 0x0
	v_add_f64_e64 v[16:17], v[4:5], -v[16:17]
	scratch_load_b64 v[4:5], off, off offset:568 th:TH_LOAD_LU ; 8-byte Folded Reload
	;; [unrolled: 3-line block ×6, first 2 shown]
	v_add_f64_e32 v[148:149], v[148:149], v[150:151]
	s_delay_alu instid0(VALU_DEP_1) | instskip(NEXT) | instid1(VALU_DEP_1)
	v_add_f64_e32 v[22:23], v[22:23], v[148:149]
	v_add_f64_e32 v[20:21], v[20:21], v[22:23]
	s_delay_alu instid0(VALU_DEP_1) | instskip(NEXT) | instid1(VALU_DEP_1)
	v_add_f64_e32 v[18:19], v[18:19], v[20:21]
	v_add_f64_e32 v[16:17], v[16:17], v[18:19]
	s_delay_alu instid0(VALU_DEP_1)
	v_add_f64_e32 v[14:15], v[14:15], v[16:17]
	s_wait_loadcnt 0x0
	v_add_f64_e32 v[152:153], v[152:153], v[4:5]
	scratch_load_b64 v[4:5], off, off offset:336 th:TH_LOAD_LU ; 8-byte Folded Reload
	s_wait_loadcnt 0x0
	v_add_f64_e32 v[154:155], v[154:155], v[4:5]
	scratch_load_b64 v[4:5], off, off offset:376 th:TH_LOAD_LU ; 8-byte Folded Reload
	v_add_f64_e32 v[150:151], v[154:155], v[178:179]
	v_mul_f64_e32 v[154:155], s[44:45], v[219:220]
	v_mul_f64_e32 v[178:179], s[10:11], v[241:242]
	s_wait_loadcnt 0x0
	v_add_f64_e32 v[158:159], v[158:159], v[4:5]
	scratch_load_b64 v[4:5], off, off offset:392 th:TH_LOAD_LU ; 8-byte Folded Reload
	v_add_f64_e32 v[148:149], v[158:159], v[150:151]
	v_mul_f64_e32 v[150:151], s[34:35], v[227:228]
	v_mul_f64_e32 v[158:159], s[26:27], v[204:205]
	;; [unrolled: 6-line block ×3, first 2 shown]
	s_wait_loadcnt 0x0
	v_add_f64_e32 v[150:151], v[150:151], v[4:5]
	scratch_load_b64 v[4:5], off, off offset:480 th:TH_LOAD_LU ; 8-byte Folded Reload
	v_add_f64_e32 v[20:21], v[150:151], v[22:23]
	v_mul_f64_e32 v[22:23], s[52:53], v[12:13]
	s_delay_alu instid0(VALU_DEP_2)
	v_add_f64_e32 v[18:19], v[152:153], v[20:21]
	v_mul_f64_e32 v[20:21], s[2:3], v[237:238]
	v_mul_f64_e32 v[152:153], s[38:39], v[215:216]
	s_wait_loadcnt 0x0
	v_add_f64_e32 v[148:149], v[148:149], v[4:5]
	scratch_load_b64 v[4:5], off, off offset:528 th:TH_LOAD_LU ; 8-byte Folded Reload
	v_add_f64_e32 v[16:17], v[148:149], v[18:19]
	v_mul_f64_e32 v[18:19], s[24:25], v[243:244]
	s_wait_loadcnt 0x0
	v_add_f64_e64 v[22:23], v[4:5], -v[22:23]
	scratch_load_b64 v[4:5], off, off offset:464 th:TH_LOAD_LU ; 8-byte Folded Reload
	v_add_f64_e32 v[150:151], v[22:23], v[14:15]
	v_mul_f64_e32 v[14:15], s[48:49], v[10:11]
	v_mul_f64_e32 v[22:23], s[52:53], v[223:224]
	s_wait_loadcnt 0x0
	v_add_f64_e32 v[20:21], v[20:21], v[4:5]
	scratch_load_b64 v[4:5], off, off offset:632 th:TH_LOAD_LU ; 8-byte Folded Reload
	v_add_f64_e32 v[148:149], v[20:21], v[16:17]
	v_mul_f64_e32 v[16:17], s[54:55], v[253:254]
	v_mul_f64_e32 v[20:21], s[36:37], v[231:232]
	s_wait_loadcnt 0x0
	v_add_f64_e64 v[14:15], v[4:5], -v[14:15]
	scratch_load_b64 v[4:5], off, off offset:624 th:TH_LOAD_LU ; 8-byte Folded Reload
	s_wait_loadcnt 0x0
	v_add_f64_e64 v[16:17], v[4:5], -v[16:17]
	scratch_load_b64 v[4:5], off, off offset:600 th:TH_LOAD_LU ; 8-byte Folded Reload
	;; [unrolled: 3-line block ×6, first 2 shown]
	v_add_f64_e32 v[152:153], v[152:153], v[174:175]
	v_mul_f64_e32 v[174:175], s[54:55], v[229:230]
	s_delay_alu instid0(VALU_DEP_2) | instskip(NEXT) | instid1(VALU_DEP_1)
	v_add_f64_e32 v[22:23], v[22:23], v[152:153]
	v_add_f64_e32 v[20:21], v[20:21], v[22:23]
	s_delay_alu instid0(VALU_DEP_1) | instskip(NEXT) | instid1(VALU_DEP_1)
	v_add_f64_e32 v[18:19], v[18:19], v[20:21]
	v_add_f64_e32 v[16:17], v[16:17], v[18:19]
	s_delay_alu instid0(VALU_DEP_1)
	v_add_f64_e32 v[14:15], v[14:15], v[16:17]
	s_wait_loadcnt 0x0
	v_add_f64_e32 v[154:155], v[154:155], v[4:5]
	scratch_load_b64 v[4:5], off, off offset:408 th:TH_LOAD_LU ; 8-byte Folded Reload
	s_wait_loadcnt 0x0
	v_add_f64_e32 v[158:159], v[158:159], v[4:5]
	scratch_load_b64 v[4:5], off, off offset:472 th:TH_LOAD_LU ; 8-byte Folded Reload
	v_add_f64_e32 v[158:159], v[158:159], v[176:177]
	v_mul_f64_e32 v[176:177], s[10:11], v[253:254]
	s_wait_loadcnt 0x0
	v_add_f64_e32 v[160:161], v[160:161], v[4:5]
	scratch_load_b64 v[4:5], off, off offset:488 th:TH_LOAD_LU ; 8-byte Folded Reload
	v_add_f64_e32 v[152:153], v[160:161], v[158:159]
	v_mul_f64_e32 v[158:159], s[22:23], v[227:228]
	v_mul_f64_e32 v[160:161], s[48:49], v[213:214]
	s_wait_loadcnt 0x0
	v_add_f64_e32 v[164:165], v[164:165], v[4:5]
	scratch_load_b64 v[4:5], off, off offset:504 th:TH_LOAD_LU ; 8-byte Folded Reload
	v_add_f64_e32 v[22:23], v[164:165], v[152:153]
	v_mul_f64_e32 v[152:153], s[14:15], v[235:236]
	;; [unrolled: 6-line block ×4, first 2 shown]
	s_delay_alu instid0(VALU_DEP_2)
	v_add_f64_e32 v[16:17], v[154:155], v[18:19]
	v_mul_f64_e32 v[18:19], s[42:43], v[206:207]
	s_wait_loadcnt 0x0
	v_add_f64_e64 v[22:23], v[4:5], -v[22:23]
	scratch_load_b64 v[4:5], off, off offset:560 th:TH_LOAD_LU ; 8-byte Folded Reload
	v_add_f64_e32 v[154:155], v[22:23], v[14:15]
	v_mul_f64_e32 v[14:15], s[42:43], v[215:216]
	v_mul_f64_e32 v[22:23], s[48:49], v[223:224]
	s_wait_loadcnt 0x0
	v_add_f64_e32 v[20:21], v[20:21], v[4:5]
	s_delay_alu instid0(VALU_DEP_1) | instskip(NEXT) | instid1(VALU_DEP_4)
	v_add_f64_e32 v[152:153], v[20:21], v[16:17]
	v_fma_f64 v[16:17], v[209:210], s[28:29], -v[14:15]
	v_fma_f64 v[20:21], v[204:205], s[28:29], v[18:19]
	v_fma_f64 v[14:15], v[209:210], s[28:29], v[14:15]
	v_fma_f64 v[18:19], v[204:205], s[28:29], -v[18:19]
	s_delay_alu instid0(VALU_DEP_4)
	v_add_f64_e32 v[16:17], v[16:17], v[156:157]
	v_fma_f64 v[156:157], v[217:218], s[44:45], -v[22:23]
	v_add_f64_e32 v[20:21], v[20:21], v[162:163]
	v_mul_f64_e32 v[162:163], s[46:47], v[231:232]
	v_add_f64_e32 v[14:15], v[14:15], v[172:173]
	v_add_f64_e32 v[18:19], v[18:19], v[168:169]
	;; [unrolled: 1-line block ×3, first 2 shown]
	v_fma_f64 v[156:157], v[211:212], s[44:45], v[160:161]
	s_delay_alu instid0(VALU_DEP_1) | instskip(SKIP_1) | instid1(VALU_DEP_1)
	v_add_f64_e32 v[20:21], v[156:157], v[20:21]
	v_fma_f64 v[156:157], v[225:226], s[26:27], -v[162:163]
	v_add_f64_e32 v[16:17], v[156:157], v[16:17]
	v_fma_f64 v[156:157], v[219:220], s[26:27], v[164:165]
	s_delay_alu instid0(VALU_DEP_1) | instskip(SKIP_1) | instid1(VALU_DEP_1)
	v_add_f64_e32 v[20:21], v[156:157], v[20:21]
	v_fma_f64 v[156:157], v[233:234], s[14:15], -v[166:167]
	v_add_f64_e32 v[16:17], v[156:157], v[16:17]
	v_fma_f64 v[156:157], v[227:228], s[14:15], v[174:175]
	s_delay_alu instid0(VALU_DEP_1) | instskip(SKIP_1) | instid1(VALU_DEP_1)
	v_add_f64_e32 v[20:21], v[156:157], v[20:21]
	v_fma_f64 v[156:157], v[239:240], s[2:3], -v[176:177]
	v_add_f64_e32 v[16:17], v[156:157], v[16:17]
	v_fma_f64 v[156:157], v[235:236], s[2:3], v[178:179]
	s_delay_alu instid0(VALU_DEP_1) | instskip(SKIP_1) | instid1(VALU_DEP_1)
	v_add_f64_e32 v[20:21], v[156:157], v[20:21]
	v_fma_f64 v[156:157], v[247:248], s[22:23], -v[180:181]
	v_add_f64_e32 v[16:17], v[156:157], v[16:17]
	v_fma_f64 v[156:157], v[245:246], s[22:23], v[182:183]
	s_delay_alu instid0(VALU_DEP_1) | instskip(SKIP_1) | instid1(VALU_DEP_1)
	v_add_f64_e32 v[20:21], v[156:157], v[20:21]
	v_fma_f64 v[156:157], v[6:7], s[34:35], -v[251:252]
	v_add_f64_e32 v[158:159], v[156:157], v[16:17]
	v_mul_f64_e32 v[16:17], s[40:41], v[8:9]
	s_delay_alu instid0(VALU_DEP_1) | instskip(SKIP_1) | instid1(VALU_DEP_2)
	v_fma_f64 v[156:157], v[237:238], s[34:35], v[16:17]
	v_fma_f64 v[16:17], v[237:238], s[34:35], -v[16:17]
	v_add_f64_e32 v[156:157], v[156:157], v[20:21]
	v_fma_f64 v[20:21], v[217:218], s[44:45], v[22:23]
	s_delay_alu instid0(VALU_DEP_1) | instskip(SKIP_1) | instid1(VALU_DEP_1)
	v_add_f64_e32 v[14:15], v[20:21], v[14:15]
	v_fma_f64 v[20:21], v[211:212], s[44:45], -v[160:161]
	v_add_f64_e32 v[18:19], v[20:21], v[18:19]
	v_fma_f64 v[20:21], v[225:226], s[26:27], v[162:163]
	s_delay_alu instid0(VALU_DEP_1) | instskip(SKIP_1) | instid1(VALU_DEP_1)
	v_add_f64_e32 v[14:15], v[20:21], v[14:15]
	;; [unrolled: 5-line block ×5, first 2 shown]
	v_fma_f64 v[20:21], v[245:246], s[22:23], -v[182:183]
	v_add_f64_e32 v[18:19], v[20:21], v[18:19]
	v_fma_f64 v[20:21], v[6:7], s[34:35], v[251:252]
	s_delay_alu instid0(VALU_DEP_2) | instskip(SKIP_1) | instid1(VALU_DEP_3)
	v_add_f64_e32 v[160:161], v[16:17], v[18:19]
	v_mul_f64_e32 v[18:19], s[10:11], v[206:207]
	v_add_f64_e32 v[162:163], v[20:21], v[14:15]
	v_mul_f64_e32 v[14:15], s[10:11], v[215:216]
	s_delay_alu instid0(VALU_DEP_3) | instskip(NEXT) | instid1(VALU_DEP_2)
	v_fma_f64 v[20:21], v[204:205], s[2:3], v[18:19]
	v_fma_f64 v[16:17], v[209:210], s[2:3], -v[14:15]
	s_delay_alu instid0(VALU_DEP_2) | instskip(SKIP_1) | instid1(VALU_DEP_3)
	v_add_f64_e32 v[4:5], v[20:21], v[170:171]
	v_mul_f64_e32 v[20:21], s[36:37], v[223:224]
	v_add_f64_e32 v[16:17], v[16:17], v[186:187]
	s_delay_alu instid0(VALU_DEP_2) | instskip(NEXT) | instid1(VALU_DEP_1)
	v_fma_f64 v[22:23], v[217:218], s[34:35], -v[20:21]
	v_add_f64_e32 v[16:17], v[22:23], v[16:17]
	v_mul_f64_e32 v[22:23], s[36:37], v[213:214]
	s_delay_alu instid0(VALU_DEP_1) | instskip(NEXT) | instid1(VALU_DEP_1)
	v_fma_f64 v[164:165], v[211:212], s[34:35], v[22:23]
	v_add_f64_e32 v[4:5], v[164:165], v[4:5]
	v_mul_f64_e32 v[164:165], s[16:17], v[231:232]
	s_delay_alu instid0(VALU_DEP_1) | instskip(NEXT) | instid1(VALU_DEP_1)
	v_fma_f64 v[166:167], v[225:226], s[14:15], -v[164:165]
	v_add_f64_e32 v[16:17], v[166:167], v[16:17]
	v_mul_f64_e32 v[166:167], s[16:17], v[221:222]
	s_delay_alu instid0(VALU_DEP_1) | instskip(NEXT) | instid1(VALU_DEP_1)
	v_fma_f64 v[168:169], v[219:220], s[14:15], v[166:167]
	v_add_f64_e32 v[4:5], v[168:169], v[4:5]
	v_mul_f64_e32 v[168:169], s[30:31], v[243:244]
	s_delay_alu instid0(VALU_DEP_1) | instskip(NEXT) | instid1(VALU_DEP_1)
	;; [unrolled: 8-line block ×4, first 2 shown]
	v_fma_f64 v[10:11], v[247:248], s[26:27], -v[178:179]
	v_add_f64_e32 v[10:11], v[10:11], v[16:17]
	v_mul_f64_e32 v[16:17], s[46:47], v[249:250]
	s_delay_alu instid0(VALU_DEP_1) | instskip(SKIP_1) | instid1(VALU_DEP_2)
	v_fma_f64 v[180:181], v[245:246], s[26:27], v[16:17]
	v_fma_f64 v[16:17], v[245:246], s[26:27], -v[16:17]
	v_add_f64_e32 v[4:5], v[180:181], v[4:5]
	v_mul_f64_e32 v[180:181], s[24:25], v[8:9]
	v_fma_f64 v[8:9], v[6:7], s[22:23], -v[12:13]
	v_fma_f64 v[6:7], v[6:7], s[22:23], v[12:13]
	s_delay_alu instid0(VALU_DEP_3) | instskip(NEXT) | instid1(VALU_DEP_3)
	v_fma_f64 v[12:13], v[237:238], s[22:23], -v[180:181]
	v_add_f64_e32 v[10:11], v[8:9], v[10:11]
	v_fma_f64 v[8:9], v[237:238], s[22:23], v[180:181]
	s_delay_alu instid0(VALU_DEP_1)
	v_add_f64_e32 v[8:9], v[8:9], v[4:5]
	v_fma_f64 v[4:5], v[209:210], s[2:3], v[14:15]
	v_fma_f64 v[14:15], v[204:205], s[2:3], -v[18:19]
	v_fma_f64 v[18:19], v[217:218], s[34:35], v[20:21]
	v_fma_f64 v[20:21], v[211:212], s[34:35], -v[22:23]
	scratch_load_b64 v[22:23], off, off offset:240 th:TH_LOAD_LU ; 8-byte Folded Reload
	v_add_f64_e32 v[4:5], v[4:5], v[184:185]
	s_delay_alu instid0(VALU_DEP_1)
	v_add_f64_e32 v[4:5], v[18:19], v[4:5]
	v_fma_f64 v[18:19], v[233:234], s[28:29], v[168:169]
	s_wait_loadcnt 0x0
	v_add_f64_e32 v[14:15], v[14:15], v[22:23]
	v_fma_f64 v[22:23], v[225:226], s[14:15], v[164:165]
	v_fma_f64 v[164:165], v[219:220], s[14:15], -v[166:167]
	s_delay_alu instid0(VALU_DEP_3) | instskip(SKIP_1) | instid1(VALU_DEP_4)
	v_add_f64_e32 v[14:15], v[20:21], v[14:15]
	v_fma_f64 v[20:21], v[227:228], s[28:29], -v[172:173]
	v_add_f64_e32 v[4:5], v[22:23], v[4:5]
	v_fma_f64 v[22:23], v[239:240], s[18:19], v[174:175]
	s_delay_alu instid0(VALU_DEP_4) | instskip(SKIP_1) | instid1(VALU_DEP_4)
	v_add_f64_e32 v[14:15], v[164:165], v[14:15]
	v_fma_f64 v[164:165], v[235:236], s[18:19], -v[176:177]
	v_add_f64_e32 v[4:5], v[18:19], v[4:5]
	v_fma_f64 v[18:19], v[247:248], s[26:27], v[178:179]
	s_delay_alu instid0(VALU_DEP_4) | instskip(NEXT) | instid1(VALU_DEP_3)
	v_add_f64_e32 v[14:15], v[20:21], v[14:15]
	v_add_f64_e32 v[4:5], v[22:23], v[4:5]
	s_delay_alu instid0(VALU_DEP_2) | instskip(NEXT) | instid1(VALU_DEP_2)
	v_add_f64_e32 v[14:15], v[164:165], v[14:15]
	v_add_f64_e32 v[4:5], v[18:19], v[4:5]
	s_delay_alu instid0(VALU_DEP_2) | instskip(NEXT) | instid1(VALU_DEP_2)
	v_add_f64_e32 v[14:15], v[16:17], v[14:15]
	v_add_f64_e32 v[6:7], v[6:7], v[4:5]
	s_delay_alu instid0(VALU_DEP_2)
	v_add_f64_e32 v[4:5], v[12:13], v[14:15]
	s_clause 0x1
	scratch_load_b32 v12, off, off
	scratch_load_b32 v13, off, off offset:4
	s_wait_loadcnt 0x1
	v_mul_lo_u16 v12, v12, 17
	s_delay_alu instid0(VALU_DEP_1) | instskip(SKIP_1) | instid1(VALU_DEP_1)
	v_and_b32_e32 v12, 0xffff, v12
	s_wait_loadcnt 0x0
	v_lshl_add_u32 v12, v12, 4, v13
	ds_store_b128 v12, v[140:143] offset:32
	ds_store_b128 v12, v[200:203] offset:192
	;; [unrolled: 1-line block ×15, first 2 shown]
	ds_store_b128 v12, v[128:131]
	ds_store_b128 v12, v[4:7] offset:256
.LBB0_17:
	s_wait_alu 0xfffe
	s_or_b32 exec_lo, exec_lo, s1
	global_wb scope:SCOPE_SE
	s_wait_storecnt_dscnt 0x0
	s_barrier_signal -1
	s_barrier_wait -1
	global_inv scope:SCOPE_SE
	ds_load_b128 v[0:3], v208
	ds_load_b128 v[124:127], v208 offset:1088
	ds_load_b128 v[148:151], v208 offset:7616
	;; [unrolled: 1-line block ×11, first 2 shown]
	s_and_saveexec_b32 s1, s0
	s_cbranch_execz .LBB0_19
; %bb.18:
	ds_load_b128 v[200:203], v208 offset:3264
	ds_load_b128 v[196:199], v208 offset:7072
	;; [unrolled: 1-line block ×4, first 2 shown]
.LBB0_19:
	s_wait_alu 0xfffe
	s_or_b32 exec_lo, exec_lo, s1
	s_clause 0x2
	scratch_load_b128 v[24:27], off, off offset:144 th:TH_LOAD_LU
	scratch_load_b128 v[174:177], off, off offset:56 th:TH_LOAD_LU
	;; [unrolled: 1-line block ×3, first 2 shown]
	s_wait_dscnt 0x7
	v_mul_f64_e32 v[4:5], v[50:51], v[162:163]
	v_mul_f64_e32 v[8:9], v[30:31], v[150:151]
	;; [unrolled: 1-line block ×3, first 2 shown]
	s_wait_dscnt 0x3
	v_mul_f64_e32 v[12:13], v[46:47], v[166:167]
	v_mul_f64_e32 v[16:17], v[42:43], v[154:155]
	;; [unrolled: 1-line block ×5, first 2 shown]
	s_wait_dscnt 0x1
	v_mul_f64_e32 v[30:31], v[34:35], v[158:159]
	v_mul_f64_e32 v[34:35], v[34:35], v[156:157]
	;; [unrolled: 1-line block ×4, first 2 shown]
	global_wb scope:SCOPE_SE
	s_wait_loadcnt_dscnt 0x0
	s_barrier_signal -1
	s_barrier_wait -1
	global_inv scope:SCOPE_SE
	v_fma_f64 v[4:5], v[48:49], v[160:161], v[4:5]
	v_fma_f64 v[8:9], v[28:29], v[148:149], v[8:9]
	v_fma_f64 v[10:11], v[28:29], v[150:151], -v[10:11]
	v_fma_f64 v[12:13], v[44:45], v[164:165], v[12:13]
	v_fma_f64 v[16:17], v[40:41], v[152:153], v[16:17]
	v_fma_f64 v[18:19], v[40:41], v[154:155], -v[18:19]
	v_fma_f64 v[20:21], v[36:37], v[132:133], v[20:21]
	v_fma_f64 v[22:23], v[36:37], v[134:135], -v[22:23]
	;; [unrolled: 2-line block ×3, first 2 shown]
	v_fma_f64 v[6:7], v[48:49], v[162:163], -v[6:7]
	v_fma_f64 v[14:15], v[44:45], v[166:167], -v[14:15]
	v_add_f64_e64 v[40:41], v[0:1], -v[8:9]
	v_add_f64_e64 v[8:9], v[4:5], -v[12:13]
	;; [unrolled: 1-line block ×5, first 2 shown]
	s_delay_alu instid0(VALU_DEP_2) | instskip(NEXT) | instid1(VALU_DEP_2)
	v_fma_f64 v[16:17], v[16:17], 2.0, -v[20:21]
	v_fma_f64 v[18:19], v[18:19], 2.0, -v[12:13]
	v_mul_f64_e32 v[38:39], v[26:27], v[138:139]
	v_mul_f64_e32 v[26:27], v[26:27], v[136:137]
	;; [unrolled: 1-line block ×6, first 2 shown]
	v_fma_f64 v[32:33], v[24:25], v[136:137], v[38:39]
	v_fma_f64 v[24:25], v[24:25], v[138:139], -v[26:27]
	v_fma_f64 v[26:27], v[174:175], v[140:141], v[42:43]
	v_fma_f64 v[34:35], v[174:175], v[142:143], -v[46:47]
	v_fma_f64 v[38:39], v[170:171], v[146:147], -v[168:169]
	v_add_f64_e64 v[46:47], v[126:127], -v[22:23]
	v_fma_f64 v[36:37], v[170:171], v[144:145], v[50:51]
	v_add_f64_e64 v[42:43], v[2:3], -v[10:11]
	v_add_f64_e64 v[10:11], v[6:7], -v[14:15]
	v_fma_f64 v[14:15], v[4:5], 2.0, -v[8:9]
	v_add_f64_e64 v[48:49], v[128:129], -v[26:27]
	v_add_f64_e64 v[50:51], v[130:131], -v[34:35]
	;; [unrolled: 1-line block ×3, first 2 shown]
	v_fma_f64 v[34:35], v[0:1], 2.0, -v[40:41]
	v_fma_f64 v[38:39], v[124:125], 2.0, -v[44:45]
	;; [unrolled: 1-line block ×3, first 2 shown]
	v_add_f64_e64 v[26:27], v[32:33], -v[36:37]
	v_fma_f64 v[36:37], v[2:3], 2.0, -v[42:43]
	v_fma_f64 v[28:29], v[6:7], 2.0, -v[10:11]
	v_add_f64_e32 v[1:2], v[40:41], v[10:11]
	v_add_f64_e64 v[3:4], v[42:43], -v[8:9]
	v_add_f64_e32 v[5:6], v[44:45], v[12:13]
	v_add_f64_e64 v[7:8], v[46:47], -v[20:21]
	v_add_nc_u32_e32 v0, 0x440, v255
	v_fma_f64 v[126:127], v[128:129], 2.0, -v[48:49]
	v_fma_f64 v[128:129], v[130:131], 2.0, -v[50:51]
	;; [unrolled: 1-line block ×3, first 2 shown]
	v_add_f64_e64 v[9:10], v[34:35], -v[14:15]
	v_add_f64_e64 v[13:14], v[38:39], -v[16:17]
	v_add_f64_e64 v[15:16], v[124:125], -v[18:19]
	v_add_f64_e32 v[17:18], v[48:49], v[22:23]
	v_fma_f64 v[30:31], v[32:33], 2.0, -v[26:27]
	v_add_f64_e64 v[11:12], v[36:37], -v[28:29]
	v_add_f64_e64 v[19:20], v[50:51], -v[26:27]
	v_fma_f64 v[27:28], v[42:43], 2.0, -v[3:4]
	v_add_f64_e64 v[23:24], v[128:129], -v[24:25]
	v_fma_f64 v[25:26], v[40:41], 2.0, -v[1:2]
	v_fma_f64 v[33:34], v[34:35], 2.0, -v[9:10]
	;; [unrolled: 1-line block ×3, first 2 shown]
	scratch_load_b32 v49, off, off offset:96 th:TH_LOAD_LU ; 4-byte Folded Reload
	v_fma_f64 v[35:36], v[36:37], 2.0, -v[11:12]
	v_fma_f64 v[37:38], v[38:39], 2.0, -v[13:14]
	;; [unrolled: 1-line block ×3, first 2 shown]
	v_add_f64_e64 v[21:22], v[126:127], -v[30:31]
	v_fma_f64 v[29:30], v[44:45], 2.0, -v[5:6]
	v_fma_f64 v[31:32], v[46:47], 2.0, -v[7:8]
	;; [unrolled: 1-line block ×3, first 2 shown]
	s_wait_loadcnt 0x0
	ds_store_b128 v49, v[9:12] offset:544
	ds_store_b128 v49, v[1:4] offset:816
	ds_store_b128 v49, v[33:36]
	ds_store_b128 v49, v[25:28] offset:272
	scratch_load_b32 v1, off, off offset:88 th:TH_LOAD_LU ; 4-byte Folded Reload
	v_fma_f64 v[45:46], v[126:127], 2.0, -v[21:22]
	v_fma_f64 v[47:48], v[128:129], 2.0, -v[23:24]
	s_wait_loadcnt 0x0
	ds_store_b128 v1, v[37:40]
	ds_store_b128 v1, v[29:32] offset:272
	ds_store_b128 v1, v[13:16] offset:544
	;; [unrolled: 1-line block ×3, first 2 shown]
	scratch_load_b32 v1, off, off offset:80 th:TH_LOAD_LU ; 4-byte Folded Reload
	s_wait_loadcnt 0x0
	ds_store_b128 v1, v[45:48]
	ds_store_b128 v1, v[41:44] offset:272
	ds_store_b128 v1, v[21:24] offset:544
	;; [unrolled: 1-line block ×3, first 2 shown]
	s_and_saveexec_b32 s1, s0
	s_cbranch_execz .LBB0_21
; %bb.20:
	s_clause 0x2
	scratch_load_b128 v[17:20], off, off offset:184 th:TH_LOAD_LU
	scratch_load_b128 v[13:16], off, off offset:168 th:TH_LOAD_LU
	;; [unrolled: 1-line block ×3, first 2 shown]
	s_wait_loadcnt 0x2
	v_mul_f64_e32 v[1:2], v[19:20], v[192:193]
	s_wait_loadcnt 0x1
	v_mul_f64_e32 v[7:8], v[15:16], v[188:189]
	;; [unrolled: 2-line block ×3, first 2 shown]
	v_mul_f64_e32 v[5:6], v[23:24], v[196:197]
	v_mul_f64_e32 v[9:10], v[19:20], v[194:195]
	;; [unrolled: 1-line block ×3, first 2 shown]
	v_fma_f64 v[1:2], v[17:18], v[194:195], -v[1:2]
	v_fma_f64 v[7:8], v[13:14], v[190:191], -v[7:8]
	v_fma_f64 v[3:4], v[21:22], v[196:197], v[3:4]
	v_fma_f64 v[5:6], v[21:22], v[198:199], -v[5:6]
	v_fma_f64 v[9:10], v[17:18], v[192:193], v[9:10]
	v_fma_f64 v[11:12], v[13:14], v[188:189], v[11:12]
	v_add_f64_e64 v[13:14], v[202:203], -v[1:2]
	s_delay_alu instid0(VALU_DEP_4) | instskip(NEXT) | instid1(VALU_DEP_4)
	v_add_f64_e64 v[1:2], v[5:6], -v[7:8]
	v_add_f64_e64 v[9:10], v[200:201], -v[9:10]
	s_delay_alu instid0(VALU_DEP_4) | instskip(NEXT) | instid1(VALU_DEP_4)
	v_add_f64_e64 v[7:8], v[3:4], -v[11:12]
	v_fma_f64 v[15:16], v[202:203], 2.0, -v[13:14]
	s_delay_alu instid0(VALU_DEP_4) | instskip(NEXT) | instid1(VALU_DEP_4)
	v_fma_f64 v[5:6], v[5:6], 2.0, -v[1:2]
	v_fma_f64 v[17:18], v[200:201], 2.0, -v[9:10]
	s_delay_alu instid0(VALU_DEP_4) | instskip(SKIP_3) | instid1(VALU_DEP_4)
	v_fma_f64 v[11:12], v[3:4], 2.0, -v[7:8]
	v_add_f64_e64 v[3:4], v[13:14], -v[7:8]
	v_add_f64_e32 v[1:2], v[9:10], v[1:2]
	v_add_f64_e64 v[7:8], v[15:16], -v[5:6]
	v_add_f64_e64 v[5:6], v[17:18], -v[11:12]
	s_delay_alu instid0(VALU_DEP_4) | instskip(NEXT) | instid1(VALU_DEP_4)
	v_fma_f64 v[11:12], v[13:14], 2.0, -v[3:4]
	v_fma_f64 v[9:10], v[9:10], 2.0, -v[1:2]
	s_delay_alu instid0(VALU_DEP_4) | instskip(NEXT) | instid1(VALU_DEP_4)
	v_fma_f64 v[15:16], v[15:16], 2.0, -v[7:8]
	v_fma_f64 v[13:14], v[17:18], 2.0, -v[5:6]
	s_clause 0x1
	scratch_load_b32 v17, off, off offset:72 th:TH_LOAD_LU
	scratch_load_b32 v18, off, off offset:4 th:TH_LOAD_LU
	s_wait_loadcnt 0x1
	v_and_b32_e32 v17, 0xffff, v17
	s_wait_loadcnt 0x0
	s_delay_alu instid0(VALU_DEP_1)
	v_lshl_add_u32 v17, v17, 4, v18
	ds_store_b128 v17, v[13:16]
	ds_store_b128 v17, v[9:12] offset:272
	ds_store_b128 v17, v[5:8] offset:544
	ds_store_b128 v17, v[1:4] offset:816
.LBB0_21:
	s_wait_alu 0xfffe
	s_or_b32 exec_lo, exec_lo, s1
	global_wb scope:SCOPE_SE
	s_wait_dscnt 0x0
	s_barrier_signal -1
	s_barrier_wait -1
	global_inv scope:SCOPE_SE
	ds_load_b128 v[1:4], v208 offset:7616
	ds_load_b128 v[5:8], v208 offset:8704
	;; [unrolled: 1-line block ×8, first 2 shown]
	s_mov_b32 s0, 0x37e14327
	s_mov_b32 s2, 0x36b3c0b5
	;; [unrolled: 1-line block ×12, first 2 shown]
	s_wait_dscnt 0x7
	v_mul_f64_e32 v[33:34], v[54:55], v[3:4]
	v_mul_f64_e32 v[35:36], v[54:55], v[1:2]
	s_wait_dscnt 0x6
	v_mul_f64_e32 v[37:38], v[54:55], v[7:8]
	v_mul_f64_e32 v[39:40], v[54:55], v[5:6]
	;; [unrolled: 3-line block ×7, first 2 shown]
	s_mov_b32 s21, 0x3fd5d0dc
	s_wait_alu 0xfffe
	s_mov_b32 s20, s18
	v_fma_f64 v[33:34], v[52:53], v[1:2], v[33:34]
	v_fma_f64 v[35:36], v[52:53], v[3:4], -v[35:36]
	v_fma_f64 v[37:38], v[52:53], v[5:6], v[37:38]
	v_fma_f64 v[39:40], v[52:53], v[7:8], -v[39:40]
	;; [unrolled: 2-line block ×6, first 2 shown]
	ds_load_b128 v[1:4], v208
	ds_load_b128 v[5:8], v208 offset:1088
	ds_load_b128 v[9:12], v208 offset:2176
	;; [unrolled: 1-line block ×5, first 2 shown]
	v_fma_f64 v[62:63], v[56:57], v[25:26], v[70:71]
	v_fma_f64 v[55:56], v[56:57], v[27:28], -v[58:59]
	global_wb scope:SCOPE_SE
	s_wait_dscnt 0x0
	s_barrier_signal -1
	s_barrier_wait -1
	global_inv scope:SCOPE_SE
	v_add_f64_e64 v[25:26], v[1:2], -v[33:34]
	v_add_f64_e64 v[27:28], v[3:4], -v[35:36]
	;; [unrolled: 1-line block ×14, first 2 shown]
	v_fma_f64 v[1:2], v[1:2], 2.0, -v[25:26]
	v_fma_f64 v[3:4], v[3:4], 2.0, -v[27:28]
	;; [unrolled: 1-line block ×12, first 2 shown]
	ds_store_b128 v208, v[1:4]
	ds_store_b128 v208, v[25:28] offset:1088
	ds_store_b128 v208, v[5:8] offset:2176
	;; [unrolled: 1-line block ×3, first 2 shown]
	scratch_load_b32 v1, off, off offset:136 th:TH_LOAD_LU ; 4-byte Folded Reload
	v_fma_f64 v[29:30], v[29:30], 2.0, -v[53:54]
	v_fma_f64 v[31:32], v[31:32], 2.0, -v[55:56]
	s_wait_loadcnt 0x0
	ds_store_b128 v1, v[9:12] offset:4352
	ds_store_b128 v1, v[37:40] offset:5440
	scratch_load_b32 v1, off, off offset:128 th:TH_LOAD_LU ; 4-byte Folded Reload
	s_wait_loadcnt 0x0
	ds_store_b128 v1, v[13:16] offset:6528
	ds_store_b128 v1, v[41:44] offset:7616
	scratch_load_b32 v1, off, off offset:120 th:TH_LOAD_LU ; 4-byte Folded Reload
	;; [unrolled: 4-line block ×4, first 2 shown]
	s_wait_loadcnt 0x0
	ds_store_b128 v1, v[29:32] offset:13056
	ds_store_b128 v1, v[53:56] offset:14144
	global_wb scope:SCOPE_SE
	s_wait_dscnt 0x0
	s_barrier_signal -1
	s_barrier_wait -1
	global_inv scope:SCOPE_SE
	ds_load_b128 v[1:4], v208 offset:2176
	ds_load_b128 v[5:8], v208 offset:4352
	;; [unrolled: 1-line block ×12, first 2 shown]
	s_wait_dscnt 0xb
	v_mul_f64_e32 v[49:50], v[82:83], v[3:4]
	v_mul_f64_e32 v[51:52], v[82:83], v[1:2]
	s_wait_dscnt 0xa
	v_mul_f64_e32 v[53:54], v[78:79], v[7:8]
	v_mul_f64_e32 v[55:56], v[78:79], v[5:6]
	;; [unrolled: 3-line block ×4, first 2 shown]
	s_wait_dscnt 0x7
	v_mul_f64_e32 v[65:66], v[98:99], v[19:20]
	s_wait_dscnt 0x6
	v_mul_f64_e32 v[69:70], v[94:95], v[23:24]
	;; [unrolled: 2-line block ×4, first 2 shown]
	v_mul_f64_e32 v[67:68], v[98:99], v[17:18]
	v_mul_f64_e32 v[71:72], v[94:95], v[21:22]
	v_mul_f64_e32 v[78:79], v[110:111], v[25:26]
	v_mul_f64_e32 v[86:87], v[122:123], v[29:30]
	s_wait_dscnt 0x2
	v_mul_f64_e32 v[90:91], v[118:119], v[39:40]
	v_mul_f64_e32 v[94:95], v[118:119], v[37:38]
	;; [unrolled: 1-line block ×4, first 2 shown]
	v_fma_f64 v[1:2], v[80:81], v[1:2], v[49:50]
	v_fma_f64 v[3:4], v[80:81], v[3:4], -v[51:52]
	v_fma_f64 v[5:6], v[76:77], v[5:6], v[53:54]
	v_fma_f64 v[7:8], v[76:77], v[7:8], -v[55:56]
	;; [unrolled: 2-line block ×4, first 2 shown]
	s_wait_dscnt 0x1
	v_mul_f64_e32 v[49:50], v[106:107], v[43:44]
	v_mul_f64_e32 v[51:52], v[106:107], v[41:42]
	s_wait_dscnt 0x0
	v_mul_f64_e32 v[53:54], v[102:103], v[47:48]
	v_mul_f64_e32 v[55:56], v[102:103], v[45:46]
	v_fma_f64 v[17:18], v[96:97], v[17:18], v[65:66]
	v_fma_f64 v[21:22], v[92:93], v[21:22], v[69:70]
	;; [unrolled: 1-line block ×4, first 2 shown]
	v_fma_f64 v[19:20], v[96:97], v[19:20], -v[67:68]
	v_fma_f64 v[23:24], v[92:93], v[23:24], -v[71:72]
	;; [unrolled: 1-line block ×4, first 2 shown]
	v_fma_f64 v[37:38], v[116:117], v[37:38], v[90:91]
	v_fma_f64 v[39:40], v[116:117], v[39:40], -v[94:95]
	v_fma_f64 v[33:34], v[112:113], v[33:34], v[98:99]
	v_fma_f64 v[35:36], v[112:113], v[35:36], -v[110:111]
	v_add_f64_e32 v[57:58], v[1:2], v[9:10]
	v_add_f64_e32 v[59:60], v[3:4], v[11:12]
	v_add_f64_e32 v[61:62], v[5:6], v[13:14]
	v_add_f64_e32 v[63:64], v[7:8], v[15:16]
	v_fma_f64 v[41:42], v[104:105], v[41:42], v[49:50]
	v_fma_f64 v[43:44], v[104:105], v[43:44], -v[51:52]
	v_fma_f64 v[45:46], v[100:101], v[45:46], v[53:54]
	v_fma_f64 v[47:48], v[100:101], v[47:48], -v[55:56]
	v_add_f64_e64 v[13:14], v[5:6], -v[13:14]
	v_add_f64_e64 v[15:16], v[7:8], -v[15:16]
	v_add_f64_e32 v[49:50], v[17:18], v[25:26]
	v_add_f64_e32 v[53:54], v[21:22], v[29:30]
	v_add_f64_e64 v[9:10], v[1:2], -v[9:10]
	v_add_f64_e64 v[11:12], v[3:4], -v[11:12]
	v_add_f64_e32 v[51:52], v[19:20], v[27:28]
	v_add_f64_e32 v[55:56], v[23:24], v[31:32]
	;; [unrolled: 4-line block ×3, first 2 shown]
	v_add_f64_e64 v[33:34], v[33:34], -v[37:38]
	v_add_f64_e64 v[35:36], v[35:36], -v[39:40]
	;; [unrolled: 1-line block ×4, first 2 shown]
	v_add_f64_e32 v[1:2], v[61:62], v[57:58]
	v_add_f64_e32 v[3:4], v[63:64], v[59:60]
	;; [unrolled: 1-line block ×3, first 2 shown]
	v_add_f64_e64 v[31:32], v[47:48], -v[43:44]
	v_add_f64_e32 v[7:8], v[43:44], v[47:48]
	v_add_f64_e64 v[29:30], v[45:46], -v[41:42]
	v_add_f64_e32 v[25:26], v[53:54], v[49:50]
	v_add_f64_e64 v[69:70], v[13:14], -v[9:10]
	v_add_f64_e64 v[71:72], v[15:16], -v[11:12]
	v_add_f64_e32 v[27:28], v[55:56], v[51:52]
	v_add_f64_e64 v[37:38], v[57:58], -v[65:66]
	v_add_f64_e64 v[39:40], v[59:60], -v[67:68]
	;; [unrolled: 1-line block ×10, first 2 shown]
	v_add_f64_e32 v[13:14], v[33:34], v[13:14]
	v_add_f64_e32 v[15:16], v[35:36], v[15:16]
	v_add_f64_e64 v[33:34], v[9:10], -v[33:34]
	v_add_f64_e64 v[35:36], v[11:12], -v[35:36]
	v_add_f64_e32 v[65:66], v[65:66], v[1:2]
	v_add_f64_e32 v[67:68], v[67:68], v[3:4]
	v_add_f64_e64 v[73:74], v[49:50], -v[5:6]
	v_add_f64_e64 v[79:80], v[31:32], -v[23:24]
	;; [unrolled: 1-line block ×5, first 2 shown]
	v_add_f64_e32 v[25:26], v[5:6], v[25:26]
	v_add_f64_e64 v[77:78], v[29:30], -v[21:22]
	v_add_f64_e32 v[21:22], v[29:30], v[21:22]
	v_add_f64_e32 v[23:24], v[31:32], v[23:24]
	v_add_f64_e32 v[27:28], v[7:8], v[27:28]
	ds_load_b128 v[1:4], v208
	ds_load_b128 v[5:8], v208 offset:1088
	v_mul_f64_e32 v[89:90], s[14:15], v[69:70]
	v_mul_f64_e32 v[37:38], s[0:1], v[37:38]
	;; [unrolled: 1-line block ×7, first 2 shown]
	v_add_f64_e64 v[31:32], v[19:20], -v[31:32]
	v_add_f64_e64 v[49:50], v[53:54], -v[49:50]
	;; [unrolled: 1-line block ×4, first 2 shown]
	v_mul_f64_e32 v[93:94], s[14:15], v[81:82]
	v_mul_f64_e32 v[95:96], s[14:15], v[83:84]
	v_add_f64_e32 v[9:10], v[13:14], v[9:10]
	v_add_f64_e32 v[11:12], v[15:16], v[11:12]
	v_mul_f64_e32 v[91:92], s[14:15], v[71:72]
	s_wait_dscnt 0x1
	v_add_f64_e32 v[1:2], v[1:2], v[65:66]
	v_add_f64_e32 v[3:4], v[3:4], v[67:68]
	v_mul_f64_e32 v[73:74], s[0:1], v[73:74]
	v_mul_f64_e32 v[79:80], s[10:11], v[79:80]
	;; [unrolled: 1-line block ×3, first 2 shown]
	s_mov_b32 s0, 0x5476071b
	v_mul_f64_e32 v[53:54], s[2:3], v[85:86]
	s_wait_dscnt 0x0
	v_add_f64_e32 v[5:6], v[5:6], v[25:26]
	v_mul_f64_e32 v[55:56], s[2:3], v[87:88]
	v_mul_f64_e32 v[77:78], s[10:11], v[77:78]
	s_mov_b32 s1, 0x3fe77f67
	s_mov_b32 s11, 0xbfe77f67
	s_wait_alu 0xfffe
	s_mov_b32 s10, s0
	v_add_f64_e32 v[7:8], v[7:8], v[27:28]
	v_add_f64_e32 v[13:14], v[21:22], v[17:18]
	;; [unrolled: 1-line block ×3, first 2 shown]
	v_fma_f64 v[17:18], v[41:42], s[2:3], v[37:38]
	v_fma_f64 v[19:20], v[43:44], s[2:3], v[39:40]
	v_fma_f64 v[21:22], v[57:58], s[0:1], -v[61:62]
	v_fma_f64 v[23:24], v[59:60], s[0:1], -v[63:64]
	v_fma_f64 v[41:42], v[33:34], s[18:19], v[45:46]
	v_fma_f64 v[43:44], v[35:36], s[18:19], v[47:48]
	v_fma_f64 v[33:34], v[33:34], s[20:21], -v[89:90]
	s_wait_alu 0xfffe
	v_fma_f64 v[37:38], v[57:58], s[10:11], -v[37:38]
	v_fma_f64 v[39:40], v[59:60], s[10:11], -v[39:40]
	;; [unrolled: 1-line block ×5, first 2 shown]
	v_fma_f64 v[61:62], v[65:66], s[16:17], v[1:2]
	v_fma_f64 v[63:64], v[67:68], s[16:17], v[3:4]
	;; [unrolled: 1-line block ×5, first 2 shown]
	v_fma_f64 v[73:74], v[49:50], s[10:11], -v[73:74]
	v_fma_f64 v[75:76], v[51:52], s[10:11], -v[75:76]
	v_fma_f64 v[25:26], v[25:26], s[16:17], v[5:6]
	v_fma_f64 v[49:50], v[49:50], s[0:1], -v[53:54]
	v_fma_f64 v[51:52], v[51:52], s[0:1], -v[55:56]
	s_mov_b32 s0, 0x37c3f68c
	s_mov_b32 s1, 0xbfdc38aa
	v_fma_f64 v[65:66], v[29:30], s[18:19], v[77:78]
	v_fma_f64 v[69:70], v[81:82], s[14:15], -v[77:78]
	v_fma_f64 v[71:72], v[83:84], s[14:15], -v[79:80]
	;; [unrolled: 1-line block ×4, first 2 shown]
	v_fma_f64 v[27:28], v[27:28], s[16:17], v[7:8]
	s_wait_alu 0xfffe
	v_fma_f64 v[41:42], v[9:10], s[0:1], v[41:42]
	v_fma_f64 v[43:44], v[11:12], s[0:1], v[43:44]
	;; [unrolled: 1-line block ×6, first 2 shown]
	v_add_f64_e32 v[53:54], v[17:18], v[61:62]
	v_add_f64_e32 v[55:56], v[19:20], v[63:64]
	;; [unrolled: 1-line block ×5, first 2 shown]
	v_fma_f64 v[63:64], v[15:16], s[0:1], v[67:68]
	v_add_f64_e32 v[21:22], v[21:22], v[61:62]
	v_add_f64_e32 v[57:58], v[57:58], v[25:26]
	;; [unrolled: 1-line block ×4, first 2 shown]
	v_fma_f64 v[61:62], v[13:14], s[0:1], v[65:66]
	v_fma_f64 v[65:66], v[13:14], s[0:1], v[69:70]
	;; [unrolled: 1-line block ×5, first 2 shown]
	v_add_f64_e32 v[59:60], v[59:60], v[27:28]
	v_add_f64_e32 v[75:76], v[75:76], v[27:28]
	;; [unrolled: 1-line block ×3, first 2 shown]
	s_and_b32 s0, exec_lo, vcc_lo
	v_add_f64_e32 v[9:10], v[43:44], v[53:54]
	v_add_f64_e64 v[29:30], v[53:54], -v[43:44]
	v_add_f64_e64 v[15:16], v[39:40], -v[33:34]
	v_add_f64_e32 v[27:28], v[33:34], v[39:40]
	v_add_f64_e32 v[13:14], v[35:36], v[37:38]
	;; [unrolled: 1-line block ×3, first 2 shown]
	v_add_f64_e64 v[17:18], v[21:22], -v[47:48]
	v_add_f64_e32 v[21:22], v[47:48], v[21:22]
	v_add_f64_e64 v[23:24], v[23:24], -v[45:46]
	v_add_f64_e32 v[33:34], v[63:64], v[57:58]
	v_add_f64_e64 v[53:54], v[57:58], -v[63:64]
	scratch_load_b32 v57, off, off offset:8 ; 4-byte Folded Reload
	v_add_f64_e64 v[25:26], v[37:38], -v[35:36]
	v_add_f64_e64 v[11:12], v[55:56], -v[41:42]
	v_add_f64_e32 v[31:32], v[41:42], v[55:56]
	v_add_f64_e64 v[41:42], v[49:50], -v[67:68]
	v_add_f64_e32 v[45:46], v[67:68], v[49:50]
	v_add_f64_e32 v[37:38], v[71:72], v[73:74]
	v_add_f64_e64 v[35:36], v[59:60], -v[61:62]
	v_add_f64_e64 v[39:40], v[75:76], -v[69:70]
	v_add_f64_e32 v[43:44], v[65:66], v[51:52]
	v_add_f64_e64 v[47:48], v[51:52], -v[65:66]
	v_add_f64_e64 v[49:50], v[73:74], -v[71:72]
	v_add_f64_e32 v[51:52], v[69:70], v[75:76]
	v_add_f64_e32 v[55:56], v[61:62], v[59:60]
	s_wait_loadcnt 0x0
	ds_store_b128 v57, v[1:4]
	ds_store_b128 v255, v[13:16] offset:4352
	ds_store_b128 v255, v[17:20] offset:6528
	;; [unrolled: 1-line block ×13, first 2 shown]
	global_wb scope:SCOPE_SE
	s_wait_dscnt 0x0
	s_barrier_signal -1
	s_barrier_wait -1
	global_inv scope:SCOPE_SE
	scratch_load_b64 v[14:15], off, off offset:16 ; 8-byte Folded Reload
	s_wait_alu 0xfffe
	s_mov_b32 exec_lo, s0
	s_cbranch_execz .LBB0_23
; %bb.22:
	scratch_load_b32 v15, off, off th:TH_LOAD_LU ; 4-byte Folded Reload
	s_mov_b32 s0, 0x1135c811
	s_mov_b32 s1, 0x3f5135c8
	s_mul_u64 s[2:3], s[4:5], 0x380
	s_wait_loadcnt 0x0
	v_lshlrev_b32_e32 v18, 4, v15
	global_load_b128 v[0:3], v18, s[8:9]
	ds_load_b128 v[4:7], v57
	ds_load_b128 v[8:11], v255 offset:896
	s_wait_loadcnt_dscnt 0x1
	v_mul_f64_e32 v[12:13], v[6:7], v[2:3]
	v_mul_f64_e32 v[2:3], v[4:5], v[2:3]
	s_delay_alu instid0(VALU_DEP_2) | instskip(NEXT) | instid1(VALU_DEP_2)
	v_fma_f64 v[4:5], v[4:5], v[0:1], v[12:13]
	v_fma_f64 v[0:1], v[0:1], v[6:7], -v[2:3]
	v_mad_co_u64_u32 v[6:7], null, s6, v14, 0
	v_mad_co_u64_u32 v[12:13], null, s4, v15, 0
	s_wait_alu 0xfffe
	s_delay_alu instid0(VALU_DEP_4) | instskip(NEXT) | instid1(VALU_DEP_4)
	v_mul_f64_e32 v[2:3], s[0:1], v[4:5]
	v_mul_f64_e32 v[4:5], s[0:1], v[0:1]
	s_delay_alu instid0(VALU_DEP_3) | instskip(NEXT) | instid1(VALU_DEP_1)
	v_dual_mov_b32 v1, v13 :: v_dual_mov_b32 v0, v7
	v_mad_co_u64_u32 v[13:14], null, s7, v14, v[0:1]
	s_delay_alu instid0(VALU_DEP_1) | instskip(SKIP_1) | instid1(VALU_DEP_1)
	v_mov_b32_e32 v7, v13
	v_mad_co_u64_u32 v[0:1], null, s5, v15, v[1:2]
	v_mov_b32_e32 v13, v0
	s_delay_alu instid0(VALU_DEP_3) | instskip(NEXT) | instid1(VALU_DEP_2)
	v_lshlrev_b64_e32 v[0:1], 4, v[6:7]
	v_lshlrev_b64_e32 v[6:7], 4, v[12:13]
	s_delay_alu instid0(VALU_DEP_2) | instskip(NEXT) | instid1(VALU_DEP_3)
	v_add_co_u32 v0, vcc_lo, s12, v0
	v_add_co_ci_u32_e32 v1, vcc_lo, s13, v1, vcc_lo
	s_delay_alu instid0(VALU_DEP_2) | instskip(SKIP_1) | instid1(VALU_DEP_2)
	v_add_co_u32 v6, vcc_lo, v0, v6
	s_wait_alu 0xfffd
	v_add_co_ci_u32_e32 v7, vcc_lo, v1, v7, vcc_lo
	s_delay_alu instid0(VALU_DEP_2)
	v_add_co_u32 v14, vcc_lo, v6, s2
	global_store_b128 v[6:7], v[2:5], off
	global_load_b128 v[2:5], v18, s[8:9] offset:896
	s_wait_alu 0xfffd
	v_add_co_ci_u32_e32 v15, vcc_lo, s3, v7, vcc_lo
	s_wait_loadcnt_dscnt 0x0
	v_mul_f64_e32 v[12:13], v[10:11], v[4:5]
	v_mul_f64_e32 v[4:5], v[8:9], v[4:5]
	s_delay_alu instid0(VALU_DEP_2) | instskip(NEXT) | instid1(VALU_DEP_2)
	v_fma_f64 v[8:9], v[8:9], v[2:3], v[12:13]
	v_fma_f64 v[4:5], v[2:3], v[10:11], -v[4:5]
	s_delay_alu instid0(VALU_DEP_2) | instskip(NEXT) | instid1(VALU_DEP_2)
	v_mul_f64_e32 v[2:3], s[0:1], v[8:9]
	v_mul_f64_e32 v[4:5], s[0:1], v[4:5]
	global_store_b128 v[14:15], v[2:5], off
	global_load_b128 v[2:5], v18, s[8:9] offset:1792
	ds_load_b128 v[6:9], v255 offset:1792
	ds_load_b128 v[10:13], v255 offset:2688
	s_wait_loadcnt_dscnt 0x1
	v_mul_f64_e32 v[16:17], v[8:9], v[4:5]
	v_mul_f64_e32 v[4:5], v[6:7], v[4:5]
	s_delay_alu instid0(VALU_DEP_2) | instskip(NEXT) | instid1(VALU_DEP_2)
	v_fma_f64 v[6:7], v[6:7], v[2:3], v[16:17]
	v_fma_f64 v[4:5], v[2:3], v[8:9], -v[4:5]
	s_delay_alu instid0(VALU_DEP_2) | instskip(NEXT) | instid1(VALU_DEP_2)
	v_mul_f64_e32 v[2:3], s[0:1], v[6:7]
	v_mul_f64_e32 v[4:5], s[0:1], v[4:5]
	v_add_co_u32 v6, vcc_lo, v14, s2
	s_wait_alu 0xfffd
	v_add_co_ci_u32_e32 v7, vcc_lo, s3, v15, vcc_lo
	s_delay_alu instid0(VALU_DEP_2) | instskip(SKIP_1) | instid1(VALU_DEP_2)
	v_add_co_u32 v14, vcc_lo, v6, s2
	s_wait_alu 0xfffd
	v_add_co_ci_u32_e32 v15, vcc_lo, s3, v7, vcc_lo
	global_store_b128 v[6:7], v[2:5], off
	global_load_b128 v[2:5], v18, s[8:9] offset:2688
	s_wait_loadcnt_dscnt 0x0
	v_mul_f64_e32 v[8:9], v[12:13], v[4:5]
	v_mul_f64_e32 v[4:5], v[10:11], v[4:5]
	s_delay_alu instid0(VALU_DEP_2) | instskip(NEXT) | instid1(VALU_DEP_2)
	v_fma_f64 v[8:9], v[10:11], v[2:3], v[8:9]
	v_fma_f64 v[4:5], v[2:3], v[12:13], -v[4:5]
	s_delay_alu instid0(VALU_DEP_2) | instskip(NEXT) | instid1(VALU_DEP_2)
	v_mul_f64_e32 v[2:3], s[0:1], v[8:9]
	v_mul_f64_e32 v[4:5], s[0:1], v[4:5]
	global_store_b128 v[14:15], v[2:5], off
	global_load_b128 v[2:5], v18, s[8:9] offset:3584
	ds_load_b128 v[6:9], v255 offset:3584
	ds_load_b128 v[10:13], v255 offset:4480
	s_wait_loadcnt_dscnt 0x1
	v_mul_f64_e32 v[16:17], v[8:9], v[4:5]
	v_mul_f64_e32 v[4:5], v[6:7], v[4:5]
	s_delay_alu instid0(VALU_DEP_2) | instskip(NEXT) | instid1(VALU_DEP_2)
	v_fma_f64 v[6:7], v[6:7], v[2:3], v[16:17]
	v_fma_f64 v[4:5], v[2:3], v[8:9], -v[4:5]
	s_delay_alu instid0(VALU_DEP_2) | instskip(NEXT) | instid1(VALU_DEP_2)
	v_mul_f64_e32 v[2:3], s[0:1], v[6:7]
	v_mul_f64_e32 v[4:5], s[0:1], v[4:5]
	v_add_co_u32 v6, vcc_lo, v14, s2
	s_wait_alu 0xfffd
	v_add_co_ci_u32_e32 v7, vcc_lo, s3, v15, vcc_lo
	s_delay_alu instid0(VALU_DEP_2) | instskip(SKIP_1) | instid1(VALU_DEP_2)
	v_add_co_u32 v14, vcc_lo, v6, s2
	s_wait_alu 0xfffd
	v_add_co_ci_u32_e32 v15, vcc_lo, s3, v7, vcc_lo
	global_store_b128 v[6:7], v[2:5], off
	global_load_b128 v[2:5], v18, s[8:9] offset:4480
	;; [unrolled: 31-line block ×3, first 2 shown]
	s_wait_loadcnt_dscnt 0x0
	v_mul_f64_e32 v[8:9], v[12:13], v[4:5]
	v_mul_f64_e32 v[4:5], v[10:11], v[4:5]
	s_delay_alu instid0(VALU_DEP_2) | instskip(NEXT) | instid1(VALU_DEP_2)
	v_fma_f64 v[8:9], v[10:11], v[2:3], v[8:9]
	v_fma_f64 v[4:5], v[2:3], v[12:13], -v[4:5]
	s_delay_alu instid0(VALU_DEP_2) | instskip(NEXT) | instid1(VALU_DEP_2)
	v_mul_f64_e32 v[2:3], s[0:1], v[8:9]
	v_mul_f64_e32 v[4:5], s[0:1], v[4:5]
	global_store_b128 v[14:15], v[2:5], off
	global_load_b128 v[2:5], v18, s[8:9] offset:7168
	ds_load_b128 v[6:9], v255 offset:7168
	ds_load_b128 v[10:13], v255 offset:8064
	v_mad_co_u64_u32 v[14:15], null, 0x700, s4, v[14:15]
	s_wait_loadcnt_dscnt 0x1
	v_mul_f64_e32 v[16:17], v[8:9], v[4:5]
	v_mul_f64_e32 v[4:5], v[6:7], v[4:5]
	s_delay_alu instid0(VALU_DEP_2) | instskip(SKIP_3) | instid1(VALU_DEP_2)
	v_fma_f64 v[6:7], v[6:7], v[2:3], v[16:17]
	scratch_load_b32 v16, off, off offset:164 th:TH_LOAD_LU ; 4-byte Folded Reload
	v_fma_f64 v[4:5], v[2:3], v[8:9], -v[4:5]
	v_mul_f64_e32 v[2:3], s[0:1], v[6:7]
	v_mul_f64_e32 v[4:5], s[0:1], v[4:5]
	s_wait_loadcnt 0x0
	v_mad_co_u64_u32 v[8:9], null, s4, v16, 0
	s_delay_alu instid0(VALU_DEP_1) | instskip(NEXT) | instid1(VALU_DEP_1)
	v_mov_b32_e32 v6, v9
	v_mad_co_u64_u32 v[6:7], null, s5, v16, v[6:7]
	s_delay_alu instid0(VALU_DEP_1) | instskip(NEXT) | instid1(VALU_DEP_1)
	v_mov_b32_e32 v9, v6
	v_lshlrev_b64_e32 v[6:7], 4, v[8:9]
	s_delay_alu instid0(VALU_DEP_1) | instskip(SKIP_1) | instid1(VALU_DEP_2)
	v_add_co_u32 v6, vcc_lo, v0, v6
	s_wait_alu 0xfffd
	v_add_co_ci_u32_e32 v7, vcc_lo, v1, v7, vcc_lo
	global_store_b128 v[6:7], v[2:5], off
	global_load_b128 v[2:5], v18, s[8:9] offset:8064
	s_wait_loadcnt_dscnt 0x0
	v_mul_f64_e32 v[6:7], v[12:13], v[4:5]
	v_mul_f64_e32 v[4:5], v[10:11], v[4:5]
	s_delay_alu instid0(VALU_DEP_2) | instskip(NEXT) | instid1(VALU_DEP_2)
	v_fma_f64 v[6:7], v[10:11], v[2:3], v[6:7]
	v_fma_f64 v[4:5], v[2:3], v[12:13], -v[4:5]
	s_delay_alu instid0(VALU_DEP_2) | instskip(SKIP_1) | instid1(VALU_DEP_3)
	v_mul_f64_e32 v[2:3], s[0:1], v[6:7]
	v_mov_b32_e32 v6, v15
	v_mul_f64_e32 v[4:5], s[0:1], v[4:5]
	s_delay_alu instid0(VALU_DEP_2) | instskip(NEXT) | instid1(VALU_DEP_1)
	v_mad_co_u64_u32 v[6:7], null, 0x700, s5, v[6:7]
	v_mov_b32_e32 v15, v6
	global_store_b128 v[14:15], v[2:5], off
	global_load_b128 v[2:5], v18, s[8:9] offset:8960
	ds_load_b128 v[6:9], v255 offset:8960
	ds_load_b128 v[10:13], v255 offset:9856
	s_wait_loadcnt_dscnt 0x1
	v_mul_f64_e32 v[16:17], v[8:9], v[4:5]
	v_mul_f64_e32 v[4:5], v[6:7], v[4:5]
	s_delay_alu instid0(VALU_DEP_2) | instskip(NEXT) | instid1(VALU_DEP_2)
	v_fma_f64 v[6:7], v[6:7], v[2:3], v[16:17]
	v_fma_f64 v[4:5], v[2:3], v[8:9], -v[4:5]
	s_delay_alu instid0(VALU_DEP_2) | instskip(NEXT) | instid1(VALU_DEP_2)
	v_mul_f64_e32 v[2:3], s[0:1], v[6:7]
	v_mul_f64_e32 v[4:5], s[0:1], v[4:5]
	v_add_co_u32 v6, vcc_lo, v14, s2
	s_wait_alu 0xfffd
	v_add_co_ci_u32_e32 v7, vcc_lo, s3, v15, vcc_lo
	s_delay_alu instid0(VALU_DEP_2) | instskip(SKIP_1) | instid1(VALU_DEP_2)
	v_add_co_u32 v14, vcc_lo, v6, s2
	s_wait_alu 0xfffd
	v_add_co_ci_u32_e32 v15, vcc_lo, s3, v7, vcc_lo
	global_store_b128 v[6:7], v[2:5], off
	global_load_b128 v[2:5], v18, s[8:9] offset:9856
	s_wait_loadcnt_dscnt 0x0
	v_mul_f64_e32 v[8:9], v[12:13], v[4:5]
	v_mul_f64_e32 v[4:5], v[10:11], v[4:5]
	s_delay_alu instid0(VALU_DEP_2) | instskip(NEXT) | instid1(VALU_DEP_2)
	v_fma_f64 v[8:9], v[10:11], v[2:3], v[8:9]
	v_fma_f64 v[4:5], v[2:3], v[12:13], -v[4:5]
	s_delay_alu instid0(VALU_DEP_2) | instskip(NEXT) | instid1(VALU_DEP_2)
	v_mul_f64_e32 v[2:3], s[0:1], v[8:9]
	v_mul_f64_e32 v[4:5], s[0:1], v[4:5]
	global_store_b128 v[14:15], v[2:5], off
	global_load_b128 v[2:5], v18, s[8:9] offset:10752
	ds_load_b128 v[6:9], v255 offset:10752
	ds_load_b128 v[10:13], v255 offset:11648
	s_wait_loadcnt_dscnt 0x1
	v_mul_f64_e32 v[16:17], v[8:9], v[4:5]
	v_mul_f64_e32 v[4:5], v[6:7], v[4:5]
	s_delay_alu instid0(VALU_DEP_2) | instskip(NEXT) | instid1(VALU_DEP_2)
	v_fma_f64 v[6:7], v[6:7], v[2:3], v[16:17]
	v_fma_f64 v[4:5], v[2:3], v[8:9], -v[4:5]
	s_delay_alu instid0(VALU_DEP_2) | instskip(NEXT) | instid1(VALU_DEP_2)
	v_mul_f64_e32 v[2:3], s[0:1], v[6:7]
	v_mul_f64_e32 v[4:5], s[0:1], v[4:5]
	v_add_co_u32 v6, vcc_lo, v14, s2
	s_wait_alu 0xfffd
	v_add_co_ci_u32_e32 v7, vcc_lo, s3, v15, vcc_lo
	s_delay_alu instid0(VALU_DEP_2) | instskip(SKIP_1) | instid1(VALU_DEP_2)
	v_add_co_u32 v14, vcc_lo, v6, s2
	s_wait_alu 0xfffd
	v_add_co_ci_u32_e32 v15, vcc_lo, s3, v7, vcc_lo
	global_store_b128 v[6:7], v[2:5], off
	global_load_b128 v[2:5], v18, s[8:9] offset:11648
	s_wait_loadcnt_dscnt 0x0
	v_mul_f64_e32 v[8:9], v[12:13], v[4:5]
	v_mul_f64_e32 v[4:5], v[10:11], v[4:5]
	s_delay_alu instid0(VALU_DEP_2) | instskip(NEXT) | instid1(VALU_DEP_2)
	v_fma_f64 v[8:9], v[10:11], v[2:3], v[8:9]
	v_fma_f64 v[4:5], v[2:3], v[12:13], -v[4:5]
	s_delay_alu instid0(VALU_DEP_2) | instskip(NEXT) | instid1(VALU_DEP_2)
	v_mul_f64_e32 v[2:3], s[0:1], v[8:9]
	v_mul_f64_e32 v[4:5], s[0:1], v[4:5]
	global_store_b128 v[14:15], v[2:5], off
	global_load_b128 v[2:5], v18, s[8:9] offset:12544
	ds_load_b128 v[6:9], v255 offset:12544
	ds_load_b128 v[10:13], v255 offset:13440
	s_wait_loadcnt_dscnt 0x1
	v_mul_f64_e32 v[16:17], v[8:9], v[4:5]
	v_mul_f64_e32 v[4:5], v[6:7], v[4:5]
	s_delay_alu instid0(VALU_DEP_2) | instskip(NEXT) | instid1(VALU_DEP_2)
	v_fma_f64 v[6:7], v[6:7], v[2:3], v[16:17]
	v_fma_f64 v[4:5], v[2:3], v[8:9], -v[4:5]
	s_delay_alu instid0(VALU_DEP_2) | instskip(NEXT) | instid1(VALU_DEP_2)
	v_mul_f64_e32 v[2:3], s[0:1], v[6:7]
	v_mul_f64_e32 v[4:5], s[0:1], v[4:5]
	v_add_co_u32 v6, vcc_lo, v14, s2
	s_wait_alu 0xfffd
	v_add_co_ci_u32_e32 v7, vcc_lo, s3, v15, vcc_lo
	global_store_b128 v[6:7], v[2:5], off
	global_load_b128 v[2:5], v18, s[8:9] offset:13440
	v_add_co_u32 v6, vcc_lo, v6, s2
	s_wait_alu 0xfffd
	v_add_co_ci_u32_e32 v7, vcc_lo, s3, v7, vcc_lo
	s_wait_loadcnt_dscnt 0x0
	v_mul_f64_e32 v[8:9], v[12:13], v[4:5]
	v_mul_f64_e32 v[4:5], v[10:11], v[4:5]
	s_delay_alu instid0(VALU_DEP_2) | instskip(NEXT) | instid1(VALU_DEP_2)
	v_fma_f64 v[8:9], v[10:11], v[2:3], v[8:9]
	v_fma_f64 v[4:5], v[2:3], v[12:13], -v[4:5]
	s_delay_alu instid0(VALU_DEP_2) | instskip(NEXT) | instid1(VALU_DEP_2)
	v_mul_f64_e32 v[2:3], s[0:1], v[8:9]
	v_mul_f64_e32 v[4:5], s[0:1], v[4:5]
	global_store_b128 v[6:7], v[2:5], off
	global_load_b128 v[2:5], v18, s[8:9] offset:14336
	ds_load_b128 v[6:9], v255 offset:14336
	s_wait_loadcnt_dscnt 0x0
	v_mul_f64_e32 v[10:11], v[8:9], v[4:5]
	v_mul_f64_e32 v[4:5], v[6:7], v[4:5]
	s_delay_alu instid0(VALU_DEP_2) | instskip(SKIP_3) | instid1(VALU_DEP_2)
	v_fma_f64 v[6:7], v[6:7], v[2:3], v[10:11]
	scratch_load_b32 v10, off, off offset:160 th:TH_LOAD_LU ; 4-byte Folded Reload
	v_fma_f64 v[4:5], v[2:3], v[8:9], -v[4:5]
	v_mul_f64_e32 v[2:3], s[0:1], v[6:7]
	v_mul_f64_e32 v[4:5], s[0:1], v[4:5]
	s_wait_loadcnt 0x0
	v_mad_co_u64_u32 v[8:9], null, s4, v10, 0
	s_delay_alu instid0(VALU_DEP_1) | instskip(NEXT) | instid1(VALU_DEP_1)
	v_mov_b32_e32 v6, v9
	v_mad_co_u64_u32 v[6:7], null, s5, v10, v[6:7]
	s_delay_alu instid0(VALU_DEP_1) | instskip(NEXT) | instid1(VALU_DEP_1)
	v_mov_b32_e32 v9, v6
	v_lshlrev_b64_e32 v[6:7], 4, v[8:9]
	s_delay_alu instid0(VALU_DEP_1) | instskip(SKIP_1) | instid1(VALU_DEP_2)
	v_add_co_u32 v0, vcc_lo, v0, v6
	s_wait_alu 0xfffd
	v_add_co_ci_u32_e32 v1, vcc_lo, v1, v7, vcc_lo
	global_store_b128 v[0:1], v[2:5], off
.LBB0_23:
	s_nop 0
	s_sendmsg sendmsg(MSG_DEALLOC_VGPRS)
	s_endpgm
	.section	.rodata,"a",@progbits
	.p2align	6, 0x0
	.amdhsa_kernel bluestein_single_fwd_len952_dim1_dp_op_CI_CI
		.amdhsa_group_segment_fixed_size 45696
		.amdhsa_private_segment_fixed_size 692
		.amdhsa_kernarg_size 104
		.amdhsa_user_sgpr_count 2
		.amdhsa_user_sgpr_dispatch_ptr 0
		.amdhsa_user_sgpr_queue_ptr 0
		.amdhsa_user_sgpr_kernarg_segment_ptr 1
		.amdhsa_user_sgpr_dispatch_id 0
		.amdhsa_user_sgpr_private_segment_size 0
		.amdhsa_wavefront_size32 1
		.amdhsa_uses_dynamic_stack 0
		.amdhsa_enable_private_segment 1
		.amdhsa_system_sgpr_workgroup_id_x 1
		.amdhsa_system_sgpr_workgroup_id_y 0
		.amdhsa_system_sgpr_workgroup_id_z 0
		.amdhsa_system_sgpr_workgroup_info 0
		.amdhsa_system_vgpr_workitem_id 0
		.amdhsa_next_free_vgpr 256
		.amdhsa_next_free_sgpr 60
		.amdhsa_reserve_vcc 1
		.amdhsa_float_round_mode_32 0
		.amdhsa_float_round_mode_16_64 0
		.amdhsa_float_denorm_mode_32 3
		.amdhsa_float_denorm_mode_16_64 3
		.amdhsa_fp16_overflow 0
		.amdhsa_workgroup_processor_mode 1
		.amdhsa_memory_ordered 1
		.amdhsa_forward_progress 0
		.amdhsa_round_robin_scheduling 0
		.amdhsa_exception_fp_ieee_invalid_op 0
		.amdhsa_exception_fp_denorm_src 0
		.amdhsa_exception_fp_ieee_div_zero 0
		.amdhsa_exception_fp_ieee_overflow 0
		.amdhsa_exception_fp_ieee_underflow 0
		.amdhsa_exception_fp_ieee_inexact 0
		.amdhsa_exception_int_div_zero 0
	.end_amdhsa_kernel
	.text
.Lfunc_end0:
	.size	bluestein_single_fwd_len952_dim1_dp_op_CI_CI, .Lfunc_end0-bluestein_single_fwd_len952_dim1_dp_op_CI_CI
                                        ; -- End function
	.section	.AMDGPU.csdata,"",@progbits
; Kernel info:
; codeLenInByte = 27340
; NumSgprs: 62
; NumVgprs: 256
; ScratchSize: 692
; MemoryBound: 0
; FloatMode: 240
; IeeeMode: 1
; LDSByteSize: 45696 bytes/workgroup (compile time only)
; SGPRBlocks: 7
; VGPRBlocks: 31
; NumSGPRsForWavesPerEU: 62
; NumVGPRsForWavesPerEU: 256
; Occupancy: 4
; WaveLimiterHint : 1
; COMPUTE_PGM_RSRC2:SCRATCH_EN: 1
; COMPUTE_PGM_RSRC2:USER_SGPR: 2
; COMPUTE_PGM_RSRC2:TRAP_HANDLER: 0
; COMPUTE_PGM_RSRC2:TGID_X_EN: 1
; COMPUTE_PGM_RSRC2:TGID_Y_EN: 0
; COMPUTE_PGM_RSRC2:TGID_Z_EN: 0
; COMPUTE_PGM_RSRC2:TIDIG_COMP_CNT: 0
	.text
	.p2alignl 7, 3214868480
	.fill 96, 4, 3214868480
	.type	__hip_cuid_b50784d826aaf9fe,@object ; @__hip_cuid_b50784d826aaf9fe
	.section	.bss,"aw",@nobits
	.globl	__hip_cuid_b50784d826aaf9fe
__hip_cuid_b50784d826aaf9fe:
	.byte	0                               ; 0x0
	.size	__hip_cuid_b50784d826aaf9fe, 1

	.ident	"AMD clang version 19.0.0git (https://github.com/RadeonOpenCompute/llvm-project roc-6.4.0 25133 c7fe45cf4b819c5991fe208aaa96edf142730f1d)"
	.section	".note.GNU-stack","",@progbits
	.addrsig
	.addrsig_sym __hip_cuid_b50784d826aaf9fe
	.amdgpu_metadata
---
amdhsa.kernels:
  - .args:
      - .actual_access:  read_only
        .address_space:  global
        .offset:         0
        .size:           8
        .value_kind:     global_buffer
      - .actual_access:  read_only
        .address_space:  global
        .offset:         8
        .size:           8
        .value_kind:     global_buffer
      - .actual_access:  read_only
        .address_space:  global
        .offset:         16
        .size:           8
        .value_kind:     global_buffer
      - .actual_access:  read_only
        .address_space:  global
        .offset:         24
        .size:           8
        .value_kind:     global_buffer
      - .actual_access:  read_only
        .address_space:  global
        .offset:         32
        .size:           8
        .value_kind:     global_buffer
      - .offset:         40
        .size:           8
        .value_kind:     by_value
      - .address_space:  global
        .offset:         48
        .size:           8
        .value_kind:     global_buffer
      - .address_space:  global
        .offset:         56
        .size:           8
        .value_kind:     global_buffer
      - .address_space:  global
        .offset:         64
        .size:           8
        .value_kind:     global_buffer
      - .address_space:  global
        .offset:         72
        .size:           8
        .value_kind:     global_buffer
      - .offset:         80
        .size:           4
        .value_kind:     by_value
      - .address_space:  global
        .offset:         88
        .size:           8
        .value_kind:     global_buffer
      - .address_space:  global
        .offset:         96
        .size:           8
        .value_kind:     global_buffer
    .group_segment_fixed_size: 45696
    .kernarg_segment_align: 8
    .kernarg_segment_size: 104
    .language:       OpenCL C
    .language_version:
      - 2
      - 0
    .max_flat_workgroup_size: 204
    .name:           bluestein_single_fwd_len952_dim1_dp_op_CI_CI
    .private_segment_fixed_size: 692
    .sgpr_count:     62
    .sgpr_spill_count: 0
    .symbol:         bluestein_single_fwd_len952_dim1_dp_op_CI_CI.kd
    .uniform_work_group_size: 1
    .uses_dynamic_stack: false
    .vgpr_count:     256
    .vgpr_spill_count: 222
    .wavefront_size: 32
    .workgroup_processor_mode: 1
amdhsa.target:   amdgcn-amd-amdhsa--gfx1201
amdhsa.version:
  - 1
  - 2
...

	.end_amdgpu_metadata
